;; amdgpu-corpus repo=ROCm/rocFFT kind=compiled arch=gfx1030 opt=O3
	.text
	.amdgcn_target "amdgcn-amd-amdhsa--gfx1030"
	.amdhsa_code_object_version 6
	.protected	fft_rtc_fwd_len924_factors_2_2_3_7_11_wgs_44_tpt_44_halfLds_dp_op_CI_CI_sbrr_dirReg ; -- Begin function fft_rtc_fwd_len924_factors_2_2_3_7_11_wgs_44_tpt_44_halfLds_dp_op_CI_CI_sbrr_dirReg
	.globl	fft_rtc_fwd_len924_factors_2_2_3_7_11_wgs_44_tpt_44_halfLds_dp_op_CI_CI_sbrr_dirReg
	.p2align	8
	.type	fft_rtc_fwd_len924_factors_2_2_3_7_11_wgs_44_tpt_44_halfLds_dp_op_CI_CI_sbrr_dirReg,@function
fft_rtc_fwd_len924_factors_2_2_3_7_11_wgs_44_tpt_44_halfLds_dp_op_CI_CI_sbrr_dirReg: ; @fft_rtc_fwd_len924_factors_2_2_3_7_11_wgs_44_tpt_44_halfLds_dp_op_CI_CI_sbrr_dirReg
; %bb.0:
	s_clause 0x2
	s_load_dwordx4 s[16:19], s[4:5], 0x18
	s_load_dwordx4 s[8:11], s[4:5], 0x0
	;; [unrolled: 1-line block ×3, first 2 shown]
	v_mul_u32_u24_e32 v2, 0x5d2, v0
	v_mov_b32_e32 v1, 0
	v_mov_b32_e32 v4, 0
	;; [unrolled: 1-line block ×3, first 2 shown]
	s_waitcnt lgkmcnt(0)
	s_load_dwordx2 s[20:21], s[16:17], 0x0
	s_load_dwordx2 s[2:3], s[18:19], 0x0
	v_cmp_lt_u64_e64 s0, s[10:11], 2
	v_add_nc_u32_sdwa v6, s6, v2 dst_sel:DWORD dst_unused:UNUSED_PAD src0_sel:DWORD src1_sel:WORD_1
	v_mov_b32_e32 v7, v1
	s_and_b32 vcc_lo, exec_lo, s0
	s_cbranch_vccnz .LBB0_8
; %bb.1:
	s_load_dwordx2 s[0:1], s[4:5], 0x10
	v_mov_b32_e32 v4, 0
	v_mov_b32_e32 v5, 0
	s_add_u32 s6, s18, 8
	s_addc_u32 s7, s19, 0
	s_add_u32 s22, s16, 8
	s_addc_u32 s23, s17, 0
	v_mov_b32_e32 v113, v5
	v_mov_b32_e32 v112, v4
	s_mov_b64 s[26:27], 1
	s_waitcnt lgkmcnt(0)
	s_add_u32 s24, s0, 8
	s_addc_u32 s25, s1, 0
.LBB0_2:                                ; =>This Inner Loop Header: Depth=1
	s_load_dwordx2 s[28:29], s[24:25], 0x0
                                        ; implicit-def: $vgpr114_vgpr115
	s_mov_b32 s0, exec_lo
	s_waitcnt lgkmcnt(0)
	v_or_b32_e32 v2, s29, v7
	v_cmpx_ne_u64_e32 0, v[1:2]
	s_xor_b32 s1, exec_lo, s0
	s_cbranch_execz .LBB0_4
; %bb.3:                                ;   in Loop: Header=BB0_2 Depth=1
	v_cvt_f32_u32_e32 v2, s28
	v_cvt_f32_u32_e32 v3, s29
	s_sub_u32 s0, 0, s28
	s_subb_u32 s30, 0, s29
	v_fmac_f32_e32 v2, 0x4f800000, v3
	v_rcp_f32_e32 v2, v2
	v_mul_f32_e32 v2, 0x5f7ffffc, v2
	v_mul_f32_e32 v3, 0x2f800000, v2
	v_trunc_f32_e32 v3, v3
	v_fmac_f32_e32 v2, 0xcf800000, v3
	v_cvt_u32_f32_e32 v3, v3
	v_cvt_u32_f32_e32 v2, v2
	v_mul_lo_u32 v8, s0, v3
	v_mul_hi_u32 v9, s0, v2
	v_mul_lo_u32 v10, s30, v2
	v_add_nc_u32_e32 v8, v9, v8
	v_mul_lo_u32 v9, s0, v2
	v_add_nc_u32_e32 v8, v8, v10
	v_mul_hi_u32 v10, v2, v9
	v_mul_lo_u32 v11, v2, v8
	v_mul_hi_u32 v12, v2, v8
	v_mul_hi_u32 v13, v3, v9
	v_mul_lo_u32 v9, v3, v9
	v_mul_hi_u32 v14, v3, v8
	v_mul_lo_u32 v8, v3, v8
	v_add_co_u32 v10, vcc_lo, v10, v11
	v_add_co_ci_u32_e32 v11, vcc_lo, 0, v12, vcc_lo
	v_add_co_u32 v9, vcc_lo, v10, v9
	v_add_co_ci_u32_e32 v9, vcc_lo, v11, v13, vcc_lo
	v_add_co_ci_u32_e32 v10, vcc_lo, 0, v14, vcc_lo
	v_add_co_u32 v8, vcc_lo, v9, v8
	v_add_co_ci_u32_e32 v9, vcc_lo, 0, v10, vcc_lo
	v_add_co_u32 v2, vcc_lo, v2, v8
	v_add_co_ci_u32_e32 v3, vcc_lo, v3, v9, vcc_lo
	v_mul_hi_u32 v8, s0, v2
	v_mul_lo_u32 v10, s30, v2
	v_mul_lo_u32 v9, s0, v3
	v_add_nc_u32_e32 v8, v8, v9
	v_mul_lo_u32 v9, s0, v2
	v_add_nc_u32_e32 v8, v8, v10
	v_mul_hi_u32 v10, v2, v9
	v_mul_lo_u32 v11, v2, v8
	v_mul_hi_u32 v12, v2, v8
	v_mul_hi_u32 v13, v3, v9
	v_mul_lo_u32 v9, v3, v9
	v_mul_hi_u32 v14, v3, v8
	v_mul_lo_u32 v8, v3, v8
	v_add_co_u32 v10, vcc_lo, v10, v11
	v_add_co_ci_u32_e32 v11, vcc_lo, 0, v12, vcc_lo
	v_add_co_u32 v9, vcc_lo, v10, v9
	v_add_co_ci_u32_e32 v9, vcc_lo, v11, v13, vcc_lo
	v_add_co_ci_u32_e32 v10, vcc_lo, 0, v14, vcc_lo
	v_add_co_u32 v8, vcc_lo, v9, v8
	v_add_co_ci_u32_e32 v9, vcc_lo, 0, v10, vcc_lo
	v_add_co_u32 v8, vcc_lo, v2, v8
	v_add_co_ci_u32_e32 v10, vcc_lo, v3, v9, vcc_lo
	v_mul_hi_u32 v12, v6, v8
	v_mad_u64_u32 v[8:9], null, v7, v8, 0
	v_mad_u64_u32 v[2:3], null, v6, v10, 0
	v_mad_u64_u32 v[10:11], null, v7, v10, 0
	v_add_co_u32 v2, vcc_lo, v12, v2
	v_add_co_ci_u32_e32 v3, vcc_lo, 0, v3, vcc_lo
	v_add_co_u32 v2, vcc_lo, v2, v8
	v_add_co_ci_u32_e32 v2, vcc_lo, v3, v9, vcc_lo
	v_add_co_ci_u32_e32 v3, vcc_lo, 0, v11, vcc_lo
	v_add_co_u32 v8, vcc_lo, v2, v10
	v_add_co_ci_u32_e32 v9, vcc_lo, 0, v3, vcc_lo
	v_mul_lo_u32 v10, s29, v8
	v_mad_u64_u32 v[2:3], null, s28, v8, 0
	v_mul_lo_u32 v11, s28, v9
	v_sub_co_u32 v2, vcc_lo, v6, v2
	v_add3_u32 v3, v3, v11, v10
	v_sub_nc_u32_e32 v10, v7, v3
	v_subrev_co_ci_u32_e64 v10, s0, s29, v10, vcc_lo
	v_add_co_u32 v11, s0, v8, 2
	v_add_co_ci_u32_e64 v12, s0, 0, v9, s0
	v_sub_co_u32 v13, s0, v2, s28
	v_sub_co_ci_u32_e32 v3, vcc_lo, v7, v3, vcc_lo
	v_subrev_co_ci_u32_e64 v10, s0, 0, v10, s0
	v_cmp_le_u32_e32 vcc_lo, s28, v13
	v_cmp_eq_u32_e64 s0, s29, v3
	v_cndmask_b32_e64 v13, 0, -1, vcc_lo
	v_cmp_le_u32_e32 vcc_lo, s29, v10
	v_cndmask_b32_e64 v14, 0, -1, vcc_lo
	v_cmp_le_u32_e32 vcc_lo, s28, v2
	;; [unrolled: 2-line block ×3, first 2 shown]
	v_cndmask_b32_e64 v15, 0, -1, vcc_lo
	v_cmp_eq_u32_e32 vcc_lo, s29, v10
	v_cndmask_b32_e64 v2, v15, v2, s0
	v_cndmask_b32_e32 v10, v14, v13, vcc_lo
	v_add_co_u32 v13, vcc_lo, v8, 1
	v_add_co_ci_u32_e32 v14, vcc_lo, 0, v9, vcc_lo
	v_cmp_ne_u32_e32 vcc_lo, 0, v10
	v_cndmask_b32_e32 v3, v14, v12, vcc_lo
	v_cndmask_b32_e32 v10, v13, v11, vcc_lo
	v_cmp_ne_u32_e32 vcc_lo, 0, v2
	v_cndmask_b32_e32 v115, v9, v3, vcc_lo
	v_cndmask_b32_e32 v114, v8, v10, vcc_lo
.LBB0_4:                                ;   in Loop: Header=BB0_2 Depth=1
	s_andn2_saveexec_b32 s0, s1
	s_cbranch_execz .LBB0_6
; %bb.5:                                ;   in Loop: Header=BB0_2 Depth=1
	v_cvt_f32_u32_e32 v2, s28
	s_sub_i32 s1, 0, s28
	v_mov_b32_e32 v115, v1
	v_rcp_iflag_f32_e32 v2, v2
	v_mul_f32_e32 v2, 0x4f7ffffe, v2
	v_cvt_u32_f32_e32 v2, v2
	v_mul_lo_u32 v3, s1, v2
	v_mul_hi_u32 v3, v2, v3
	v_add_nc_u32_e32 v2, v2, v3
	v_mul_hi_u32 v2, v6, v2
	v_mul_lo_u32 v3, v2, s28
	v_add_nc_u32_e32 v8, 1, v2
	v_sub_nc_u32_e32 v3, v6, v3
	v_subrev_nc_u32_e32 v9, s28, v3
	v_cmp_le_u32_e32 vcc_lo, s28, v3
	v_cndmask_b32_e32 v3, v3, v9, vcc_lo
	v_cndmask_b32_e32 v2, v2, v8, vcc_lo
	v_cmp_le_u32_e32 vcc_lo, s28, v3
	v_add_nc_u32_e32 v8, 1, v2
	v_cndmask_b32_e32 v114, v2, v8, vcc_lo
.LBB0_6:                                ;   in Loop: Header=BB0_2 Depth=1
	s_or_b32 exec_lo, exec_lo, s0
	v_mul_lo_u32 v8, v115, s28
	v_mul_lo_u32 v9, v114, s29
	s_load_dwordx2 s[0:1], s[22:23], 0x0
	v_mad_u64_u32 v[2:3], null, v114, s28, 0
	s_load_dwordx2 s[28:29], s[6:7], 0x0
	s_add_u32 s26, s26, 1
	s_addc_u32 s27, s27, 0
	s_add_u32 s6, s6, 8
	s_addc_u32 s7, s7, 0
	s_add_u32 s22, s22, 8
	v_add3_u32 v3, v3, v9, v8
	v_sub_co_u32 v2, vcc_lo, v6, v2
	s_addc_u32 s23, s23, 0
	s_add_u32 s24, s24, 8
	v_sub_co_ci_u32_e32 v3, vcc_lo, v7, v3, vcc_lo
	s_addc_u32 s25, s25, 0
	s_waitcnt lgkmcnt(0)
	v_mul_lo_u32 v6, s0, v3
	v_mul_lo_u32 v7, s1, v2
	v_mad_u64_u32 v[4:5], null, s0, v2, v[4:5]
	v_mul_lo_u32 v3, s28, v3
	v_mul_lo_u32 v8, s29, v2
	v_mad_u64_u32 v[112:113], null, s28, v2, v[112:113]
	v_cmp_ge_u64_e64 s0, s[26:27], s[10:11]
	v_add3_u32 v5, v7, v5, v6
	v_add3_u32 v113, v8, v113, v3
	s_and_b32 vcc_lo, exec_lo, s0
	s_cbranch_vccnz .LBB0_9
; %bb.7:                                ;   in Loop: Header=BB0_2 Depth=1
	v_mov_b32_e32 v6, v114
	v_mov_b32_e32 v7, v115
	s_branch .LBB0_2
.LBB0_8:
	v_mov_b32_e32 v113, v5
	v_mov_b32_e32 v115, v7
	;; [unrolled: 1-line block ×4, first 2 shown]
.LBB0_9:
	s_load_dwordx2 s[0:1], s[4:5], 0x28
	v_mul_hi_u32 v1, 0x5d1745e, v0
	s_lshl_b64 s[6:7], s[10:11], 3
                                        ; implicit-def: $vgpr128
                                        ; implicit-def: $vgpr129
                                        ; implicit-def: $vgpr116
                                        ; implicit-def: $vgpr117
                                        ; implicit-def: $vgpr118
                                        ; implicit-def: $vgpr119
                                        ; implicit-def: $vgpr120
                                        ; implicit-def: $vgpr125
                                        ; implicit-def: $vgpr126
                                        ; implicit-def: $vgpr127
	s_add_u32 s4, s18, s6
	s_addc_u32 s5, s19, s7
	s_waitcnt lgkmcnt(0)
	v_cmp_gt_u64_e32 vcc_lo, s[0:1], v[114:115]
	v_cmp_le_u64_e64 s0, s[0:1], v[114:115]
	s_and_saveexec_b32 s1, s0
	s_xor_b32 s0, exec_lo, s1
; %bb.10:
	v_mul_u32_u24_e32 v1, 44, v1
                                        ; implicit-def: $vgpr4_vgpr5
	v_sub_nc_u32_e32 v128, v0, v1
                                        ; implicit-def: $vgpr1
                                        ; implicit-def: $vgpr0
	v_add_nc_u32_e32 v129, 44, v128
	v_add_nc_u32_e32 v116, 0x58, v128
	;; [unrolled: 1-line block ×9, first 2 shown]
; %bb.11:
	s_or_saveexec_b32 s1, s0
	s_load_dwordx2 s[4:5], s[4:5], 0x0
                                        ; implicit-def: $vgpr78_vgpr79
                                        ; implicit-def: $vgpr58_vgpr59
                                        ; implicit-def: $vgpr42_vgpr43
                                        ; implicit-def: $vgpr6_vgpr7
                                        ; implicit-def: $vgpr46_vgpr47
                                        ; implicit-def: $vgpr10_vgpr11
                                        ; implicit-def: $vgpr50_vgpr51
                                        ; implicit-def: $vgpr14_vgpr15
                                        ; implicit-def: $vgpr54_vgpr55
                                        ; implicit-def: $vgpr18_vgpr19
                                        ; implicit-def: $vgpr62_vgpr63
                                        ; implicit-def: $vgpr22_vgpr23
                                        ; implicit-def: $vgpr66_vgpr67
                                        ; implicit-def: $vgpr26_vgpr27
                                        ; implicit-def: $vgpr74_vgpr75
                                        ; implicit-def: $vgpr30_vgpr31
                                        ; implicit-def: $vgpr82_vgpr83
                                        ; implicit-def: $vgpr34_vgpr35
                                        ; implicit-def: $vgpr86_vgpr87
                                        ; implicit-def: $vgpr38_vgpr39
                                        ; implicit-def: $vgpr70_vgpr71
                                        ; implicit-def: $vgpr2_vgpr3
	s_xor_b32 exec_lo, exec_lo, s1
	s_cbranch_execz .LBB0_15
; %bb.12:
	s_add_u32 s6, s16, s6
	s_addc_u32 s7, s17, s7
	v_mul_u32_u24_e32 v1, 44, v1
	s_load_dwordx2 s[6:7], s[6:7], 0x0
	v_lshlrev_b64 v[2:3], 4, v[4:5]
	v_sub_nc_u32_e32 v128, v0, v1
	v_add_nc_u32_e32 v13, 0x1ce, v128
	v_mad_u64_u32 v[0:1], null, s20, v128, 0
	v_add_nc_u32_e32 v129, 44, v128
	v_add_nc_u32_e32 v16, 0x1fa, v128
	v_mad_u64_u32 v[4:5], null, s20, v13, 0
	v_add_nc_u32_e32 v116, 0x58, v128
	v_mad_u64_u32 v[6:7], null, s20, v129, 0
	v_mad_u64_u32 v[10:11], null, s21, v128, v[1:2]
	s_waitcnt lgkmcnt(0)
	v_mul_lo_u32 v14, s7, v114
	v_mul_lo_u32 v15, s6, v115
	v_mad_u64_u32 v[8:9], null, s6, v114, 0
	v_mov_b32_e32 v1, v5
	v_mad_u64_u32 v[11:12], null, s20, v16, 0
	v_mov_b32_e32 v5, v7
	v_add_nc_u32_e32 v117, 0x84, v128
	v_add_nc_u32_e32 v20, 0x252, v128
	v_add3_u32 v9, v9, v15, v14
	v_mad_u64_u32 v[13:14], null, s21, v13, v[1:2]
	v_mov_b32_e32 v1, v10
	v_mad_u64_u32 v[14:15], null, s20, v116, 0
	v_lshlrev_b64 v[7:8], 4, v[8:9]
	v_mad_u64_u32 v[9:10], null, s21, v129, v[5:6]
	v_mov_b32_e32 v10, v12
	v_mov_b32_e32 v5, v13
	v_lshlrev_b64 v[0:1], 4, v[0:1]
	v_add_co_u32 v12, s0, s12, v7
	v_add_co_ci_u32_e64 v8, s0, s13, v8, s0
	v_mov_b32_e32 v7, v9
	v_add_co_u32 v58, s0, v12, v2
	v_add_co_ci_u32_e64 v59, s0, v8, v3, s0
	v_lshlrev_b64 v[2:3], 4, v[4:5]
	v_add_co_u32 v0, s0, v58, v0
	v_add_nc_u32_e32 v13, 0x226, v128
	v_add_co_ci_u32_e64 v1, s0, v59, v1, s0
	v_add_co_u32 v8, s0, v58, v2
	v_mad_u64_u32 v[4:5], null, s21, v16, v[10:11]
	v_add_co_ci_u32_e64 v9, s0, v59, v3, s0
	v_lshlrev_b64 v[2:3], 4, v[6:7]
	v_mad_u64_u32 v[6:7], null, s20, v13, 0
	v_mov_b32_e32 v5, v15
	v_mov_b32_e32 v12, v4
	v_add_nc_u32_e32 v118, 0xb0, v128
	v_add_co_u32 v16, s0, v58, v2
	v_add_co_ci_u32_e64 v17, s0, v59, v3, s0
	v_mad_u64_u32 v[4:5], null, s21, v116, v[5:6]
	v_mov_b32_e32 v5, v7
	v_lshlrev_b64 v[2:3], 4, v[11:12]
	v_mad_u64_u32 v[10:11], null, s20, v117, 0
	v_add_nc_u32_e32 v24, 0x27e, v128
	v_add_nc_u32_e32 v119, 0xdc, v128
	v_mov_b32_e32 v15, v4
	v_mad_u64_u32 v[4:5], null, s21, v13, v[5:6]
	v_add_co_u32 v12, s0, v58, v2
	v_add_co_ci_u32_e64 v13, s0, v59, v3, s0
	v_lshlrev_b64 v[2:3], 4, v[14:15]
	v_mov_b32_e32 v5, v11
	v_mov_b32_e32 v7, v4
	v_mad_u64_u32 v[14:15], null, s20, v20, 0
	v_add_nc_u32_e32 v28, 0x2aa, v128
	v_add_co_u32 v18, s0, v58, v2
	v_mad_u64_u32 v[4:5], null, s21, v117, v[5:6]
	v_add_co_ci_u32_e64 v19, s0, v59, v3, s0
	v_lshlrev_b64 v[2:3], 4, v[6:7]
	v_mad_u64_u32 v[6:7], null, s20, v118, 0
	v_mov_b32_e32 v5, v15
	v_mov_b32_e32 v11, v4
	v_add_nc_u32_e32 v120, 0x108, v128
	v_add_nc_u32_e32 v125, 0x134, v128
	;; [unrolled: 1-line block ×4, first 2 shown]
	v_mad_u64_u32 v[4:5], null, s21, v20, v[5:6]
	v_add_co_u32 v20, s0, v58, v2
	v_mov_b32_e32 v5, v7
	v_add_co_ci_u32_e64 v21, s0, v59, v3, s0
	v_lshlrev_b64 v[2:3], 4, v[10:11]
	v_mad_u64_u32 v[10:11], null, s20, v24, 0
	v_mov_b32_e32 v15, v4
	v_mad_u64_u32 v[4:5], null, s21, v118, v[5:6]
	v_add_co_u32 v22, s0, v58, v2
	v_add_co_ci_u32_e64 v23, s0, v59, v3, s0
	v_lshlrev_b64 v[2:3], 4, v[14:15]
	v_mov_b32_e32 v5, v11
	v_mov_b32_e32 v7, v4
	v_mad_u64_u32 v[14:15], null, s20, v119, 0
	v_add_nc_u32_e32 v127, 0x18c, v128
	v_mad_u64_u32 v[4:5], null, s21, v24, v[5:6]
	v_add_co_u32 v24, s0, v58, v2
	v_add_co_ci_u32_e64 v25, s0, v59, v3, s0
	v_lshlrev_b64 v[2:3], 4, v[6:7]
	v_mad_u64_u32 v[6:7], null, s20, v28, 0
	v_mov_b32_e32 v5, v15
	v_mov_b32_e32 v11, v4
	v_add_nc_u32_e32 v37, 0x35a, v128
	v_add_co_u32 v26, s0, v58, v2
	v_add_co_ci_u32_e64 v27, s0, v59, v3, s0
	v_mad_u64_u32 v[4:5], null, s21, v119, v[5:6]
	v_mov_b32_e32 v5, v7
	v_lshlrev_b64 v[2:3], 4, v[10:11]
	v_mad_u64_u32 v[10:11], null, s20, v120, 0
	v_mad_u64_u32 v[33:34], null, s20, v37, 0
	v_mov_b32_e32 v15, v4
	v_mad_u64_u32 v[4:5], null, s21, v28, v[5:6]
	v_add_co_u32 v40, s0, v58, v2
	v_add_nc_u32_e32 v28, 0x2d6, v128
	v_add_co_ci_u32_e64 v41, s0, v59, v3, s0
	v_lshlrev_b64 v[2:3], 4, v[14:15]
	v_mov_b32_e32 v5, v11
	v_mov_b32_e32 v7, v4
	v_mad_u64_u32 v[14:15], null, s20, v28, 0
	s_mov_b32 s6, exec_lo
	v_add_co_u32 v42, s0, v58, v2
	v_mad_u64_u32 v[4:5], null, s21, v120, v[5:6]
	v_add_co_ci_u32_e64 v43, s0, v59, v3, s0
	v_lshlrev_b64 v[2:3], 4, v[6:7]
	v_mad_u64_u32 v[6:7], null, s20, v125, 0
	v_mov_b32_e32 v5, v15
	v_mov_b32_e32 v11, v4
	v_add_co_u32 v44, s0, v58, v2
	v_add_co_ci_u32_e64 v45, s0, v59, v3, s0
	v_mad_u64_u32 v[4:5], null, s21, v28, v[5:6]
	v_add_nc_u32_e32 v28, 0x302, v128
	v_lshlrev_b64 v[2:3], 4, v[10:11]
	v_mov_b32_e32 v5, v7
	v_mad_u64_u32 v[10:11], null, s20, v28, 0
	v_mov_b32_e32 v15, v4
	v_mad_u64_u32 v[4:5], null, s21, v125, v[5:6]
	v_add_co_u32 v46, s0, v58, v2
	v_add_co_ci_u32_e64 v47, s0, v59, v3, s0
	v_mov_b32_e32 v2, v11
	v_lshlrev_b64 v[14:15], 4, v[14:15]
	v_mov_b32_e32 v7, v4
	v_mad_u64_u32 v[2:3], null, s21, v28, v[2:3]
	v_mad_u64_u32 v[3:4], null, s20, v126, 0
	v_mad_u64_u32 v[28:29], null, s20, v35, 0
	v_lshlrev_b64 v[5:6], 4, v[6:7]
	v_add_co_u32 v14, s0, v58, v14
	v_mov_b32_e32 v11, v2
	v_mov_b32_e32 v2, v4
	v_add_co_ci_u32_e64 v15, s0, v59, v15, s0
	v_add_co_u32 v5, s0, v58, v5
	v_mad_u64_u32 v[30:31], null, s21, v126, v[2:3]
	v_mad_u64_u32 v[31:32], null, s20, v127, 0
	v_mov_b32_e32 v2, v29
	v_lshlrev_b64 v[10:11], 4, v[10:11]
	v_add_co_ci_u32_e64 v6, s0, v59, v6, s0
	v_mov_b32_e32 v4, v30
	v_mad_u64_u32 v[29:30], null, s21, v35, v[2:3]
	v_mov_b32_e32 v7, v32
	v_mov_b32_e32 v2, v34
	v_lshlrev_b64 v[3:4], 4, v[3:4]
	v_add_co_u32 v10, s0, v58, v10
	v_mad_u64_u32 v[35:36], null, s21, v127, v[7:8]
	v_lshlrev_b64 v[28:29], 4, v[28:29]
	v_add_co_ci_u32_e64 v11, s0, v59, v11, s0
	v_add_co_u32 v56, s0, v58, v3
	v_add_co_ci_u32_e64 v57, s0, v59, v4, s0
	v_mov_b32_e32 v32, v35
	v_mad_u64_u32 v[34:35], null, s21, v37, v[2:3]
	s_clause 0x1
	global_load_dwordx4 v[0:3], v[0:1], off
	global_load_dwordx4 v[68:71], v[8:9], off
	v_add_co_u32 v76, s0, v58, v28
	v_lshlrev_b64 v[7:8], 4, v[31:32]
	v_add_co_ci_u32_e64 v77, s0, v59, v29, s0
	v_lshlrev_b64 v[28:29], 4, v[33:34]
	v_add_co_u32 v78, s0, v58, v7
	v_add_co_ci_u32_e64 v79, s0, v59, v8, s0
	v_add_co_u32 v88, s0, v58, v28
	v_add_co_ci_u32_e64 v89, s0, v59, v29, s0
	s_clause 0x11
	global_load_dwordx4 v[36:39], v[16:17], off
	global_load_dwordx4 v[84:87], v[12:13], off
	;; [unrolled: 1-line block ×18, first 2 shown]
                                        ; implicit-def: $vgpr56_vgpr57
                                        ; implicit-def: $vgpr76_vgpr77
	v_cmpx_gt_u32_e32 22, v128
	s_cbranch_execz .LBB0_14
; %bb.13:
	v_add_nc_u32_e32 v78, 0x1b8, v128
	v_add_nc_u32_e32 v88, 0x386, v128
	v_mad_u64_u32 v[56:57], null, s20, v78, 0
	v_mad_u64_u32 v[76:77], null, s20, v88, 0
	v_mad_u64_u32 v[78:79], null, s21, v78, v[57:58]
	v_mad_u64_u32 v[88:89], null, s21, v88, v[77:78]
	v_mov_b32_e32 v57, v78
	v_lshlrev_b64 v[56:57], 4, v[56:57]
	v_mov_b32_e32 v77, v88
	v_add_co_u32 v56, s0, v58, v56
	v_lshlrev_b64 v[76:77], 4, v[76:77]
	v_add_co_ci_u32_e64 v57, s0, v59, v57, s0
	v_add_co_u32 v76, s0, v58, v76
	v_add_co_ci_u32_e64 v77, s0, v59, v77, s0
	s_clause 0x1
	global_load_dwordx4 v[56:59], v[56:57], off
	global_load_dwordx4 v[76:79], v[76:77], off
.LBB0_14:
	s_or_b32 exec_lo, exec_lo, s6
.LBB0_15:
	s_or_b32 exec_lo, exec_lo, s1
	s_waitcnt vmcnt(18)
	v_add_f64 v[94:95], v[0:1], -v[68:69]
	s_waitcnt vmcnt(0)
	v_add_f64 v[90:91], v[56:57], -v[76:77]
	v_add_f64 v[98:99], v[36:37], -v[84:85]
	;; [unrolled: 1-line block ×10, first 2 shown]
	v_add_nc_u32_e32 v68, 0x1b8, v128
	v_lshl_add_u32 v72, v128, 4, 0
	v_lshl_add_u32 v69, v129, 4, 0
	v_cmp_gt_u32_e64 s0, 22, v128
	v_fma_f64 v[92:93], v[0:1], 2.0, -v[94:95]
	v_fma_f64 v[88:89], v[56:57], 2.0, -v[90:91]
	;; [unrolled: 1-line block ×11, first 2 shown]
	v_lshl_add_u32 v9, v116, 4, 0
	v_lshl_add_u32 v8, v117, 4, 0
	;; [unrolled: 1-line block ×9, first 2 shown]
	ds_write_b128 v72, v[92:95]
	ds_write_b128 v69, v[96:99]
	;; [unrolled: 1-line block ×10, first 2 shown]
	s_and_saveexec_b32 s1, s0
	s_cbranch_execz .LBB0_17
; %bb.16:
	ds_write_b128 v4, v[88:91]
.LBB0_17:
	s_or_b32 exec_lo, exec_lo, s1
	v_lshl_add_u32 v130, v128, 3, 0
	v_lshlrev_b32_e32 v5, 3, v116
	v_lshlrev_b32_e32 v17, 3, v117
	;; [unrolled: 1-line block ×3, first 2 shown]
	v_lshl_add_u32 v131, v129, 3, 0
	v_add_nc_u32_e32 v0, 0x800, v130
	v_add_nc_u32_e32 v36, 0x1000, v130
	v_lshlrev_b32_e32 v73, 3, v119
	v_sub_nc_u32_e32 v32, v9, v5
	v_lshlrev_b32_e32 v76, 3, v120
	v_sub_nc_u32_e32 v37, v8, v17
	v_lshlrev_b32_e32 v77, 3, v125
	v_lshlrev_b32_e32 v80, 3, v126
	;; [unrolled: 1-line block ×3, first 2 shown]
	s_waitcnt lgkmcnt(0)
	s_barrier
	buffer_gl0_inv
	ds_read2_b64 v[96:99], v0 offset0:206 offset1:250
	ds_read2_b64 v[92:95], v36 offset0:38 offset1:82
	ds_read_b64 v[0:1], v130
	ds_read_b64 v[28:29], v131
	ds_read_b64 v[32:33], v32
	ds_read_b64 v[40:41], v37
	v_sub_nc_u32_e32 v37, v16, v21
	v_add_nc_u32_e32 v44, 0x1400, v130
	ds_read2_b64 v[100:103], v36 offset0:126 offset1:170
	v_sub_nc_u32_e32 v36, v13, v73
	v_sub_nc_u32_e32 v52, v20, v76
	;; [unrolled: 1-line block ×4, first 2 shown]
	v_add_nc_u32_e32 v61, 0x1800, v130
	v_sub_nc_u32_e32 v64, v12, v81
	ds_read2_b64 v[104:107], v44 offset0:86 offset1:130
	ds_read_b64 v[44:45], v37
	ds_read_b64 v[48:49], v36
	;; [unrolled: 1-line block ×4, first 2 shown]
	ds_read2_b64 v[108:111], v61 offset0:46 offset1:90
	ds_read_b64 v[60:61], v60
	ds_read_b64 v[64:65], v64
	s_and_saveexec_b32 s1, s0
	s_cbranch_execz .LBB0_19
; %bb.18:
	ds_read_b64 v[88:89], v130 offset:3520
	ds_read_b64 v[90:91], v130 offset:7216
.LBB0_19:
	s_or_b32 exec_lo, exec_lo, s1
	v_add_f64 v[84:85], v[2:3], -v[70:71]
	v_add_f64 v[134:135], v[34:35], -v[82:83]
	;; [unrolled: 1-line block ×11, first 2 shown]
	s_waitcnt lgkmcnt(0)
	s_barrier
	buffer_gl0_inv
	v_fma_f64 v[82:83], v[2:3], 2.0, -v[84:85]
	v_fma_f64 v[132:133], v[34:35], 2.0, -v[134:135]
	;; [unrolled: 1-line block ×11, first 2 shown]
	v_sub_nc_u32_e32 v11, 0, v5
	v_sub_nc_u32_e32 v10, 0, v17
	;; [unrolled: 1-line block ×8, first 2 shown]
	ds_write_b128 v72, v[82:85]
	ds_write_b128 v69, v[121:124]
	ds_write_b128 v9, v[132:135]
	ds_write_b128 v8, v[136:139]
	ds_write_b128 v16, v[140:143]
	ds_write_b128 v13, v[144:147]
	ds_write_b128 v20, v[148:151]
	ds_write_b128 v25, v[152:155]
	ds_write_b128 v24, v[156:159]
	ds_write_b128 v12, v[160:163]
	s_and_saveexec_b32 s1, s0
	s_cbranch_execz .LBB0_21
; %bb.20:
	ds_write_b128 v4, v[34:37]
.LBB0_21:
	s_or_b32 exec_lo, exec_lo, s1
	v_add_nc_u32_e32 v4, 0x800, v130
	v_add_nc_u32_e32 v18, 0x1000, v130
	;; [unrolled: 1-line block ×10, first 2 shown]
	s_waitcnt lgkmcnt(0)
	s_barrier
	buffer_gl0_inv
	ds_read2_b64 v[4:7], v4 offset0:206 offset1:250
	ds_read2_b64 v[8:11], v18 offset0:38 offset1:82
	ds_read_b64 v[38:39], v130
	ds_read_b64 v[42:43], v131
	;; [unrolled: 1-line block ×4, first 2 shown]
	ds_read2_b64 v[16:19], v18 offset0:126 offset1:170
	ds_read2_b64 v[20:23], v22 offset0:86 offset1:130
	v_add_nc_u32_e32 v3, v24, v3
	v_add_nc_u32_e32 v123, v12, v2
	ds_read_b64 v[54:55], v134
	ds_read_b64 v[58:59], v135
	;; [unrolled: 1-line block ×4, first 2 shown]
	ds_read2_b64 v[24:27], v13 offset0:46 offset1:90
	ds_read_b64 v[80:81], v3
	ds_read_b64 v[82:83], v123
	v_lshlrev_b32_e32 v72, 1, v128
	v_lshlrev_b32_e32 v2, 1, v129
	v_lshlrev_b32_e32 v3, 1, v116
	v_lshlrev_b32_e32 v30, 1, v117
	v_lshlrev_b32_e32 v31, 1, v118
	v_lshlrev_b32_e32 v66, 1, v119
	v_lshlrev_b32_e32 v67, 1, v120
	v_lshlrev_b32_e32 v69, 1, v125
	v_lshlrev_b32_e32 v70, 1, v126
	v_lshlrev_b32_e32 v71, 1, v127
	s_and_saveexec_b32 s1, s0
	s_cbranch_execz .LBB0_23
; %bb.22:
	ds_read_b64 v[34:35], v130 offset:3520
	ds_read_b64 v[36:37], v130 offset:7216
.LBB0_23:
	s_or_b32 exec_lo, exec_lo, s1
	v_and_b32_e32 v85, 1, v128
	v_lshlrev_b32_e32 v12, 4, v85
	v_and_or_b32 v127, 0xfc, v2, v85
	v_and_or_b32 v150, 0x1fc, v3, v85
	;; [unrolled: 1-line block ×4, first 2 shown]
	global_load_dwordx4 v[12:15], v12, s[8:9]
	v_and_or_b32 v153, 0x3fc, v66, v85
	v_and_or_b32 v154, 0x2fc, v67, v85
	;; [unrolled: 1-line block ×5, first 2 shown]
	s_waitcnt vmcnt(0) lgkmcnt(0)
	s_barrier
	buffer_gl0_inv
	v_mul_f64 v[73:74], v[4:5], v[14:15]
	v_mul_f64 v[75:76], v[6:7], v[14:15]
	;; [unrolled: 1-line block ×11, first 2 shown]
	v_fma_f64 v[73:74], v[96:97], v[12:13], -v[73:74]
	v_fma_f64 v[75:76], v[98:99], v[12:13], -v[75:76]
	v_fma_f64 v[146:147], v[92:93], v[12:13], -v[86:87]
	v_fma_f64 v[125:126], v[94:95], v[12:13], -v[125:126]
	v_fma_f64 v[132:133], v[100:101], v[12:13], -v[132:133]
	v_fma_f64 v[136:137], v[102:103], v[12:13], -v[136:137]
	v_fma_f64 v[138:139], v[104:105], v[12:13], -v[138:139]
	v_fma_f64 v[140:141], v[106:107], v[12:13], -v[140:141]
	v_fma_f64 v[142:143], v[108:109], v[12:13], -v[142:143]
	v_fma_f64 v[144:145], v[110:111], v[12:13], -v[144:145]
	v_and_or_b32 v87, 0x7c, v72, v85
	v_lshlrev_b32_e32 v86, 1, v68
	v_add_f64 v[72:73], v[0:1], -v[73:74]
	v_add_f64 v[74:75], v[28:29], -v[75:76]
	;; [unrolled: 1-line block ×3, first 2 shown]
	v_fma_f64 v[146:147], v[90:91], v[12:13], -v[148:149]
	v_add_f64 v[125:126], v[40:41], -v[125:126]
	v_add_f64 v[132:133], v[44:45], -v[132:133]
	;; [unrolled: 1-line block ×7, first 2 shown]
	v_fma_f64 v[0:1], v[0:1], 2.0, -v[72:73]
	v_fma_f64 v[28:29], v[28:29], 2.0, -v[74:75]
	;; [unrolled: 1-line block ×3, first 2 shown]
	v_add_f64 v[2:3], v[88:89], -v[146:147]
	v_fma_f64 v[66:67], v[40:41], 2.0, -v[125:126]
	v_fma_f64 v[68:69], v[44:45], 2.0, -v[132:133]
	;; [unrolled: 1-line block ×7, first 2 shown]
	v_lshl_add_u32 v32, v87, 3, 0
	v_lshl_add_u32 v33, v127, 3, 0
	v_lshl_add_u32 v40, v150, 3, 0
	v_lshl_add_u32 v41, v151, 3, 0
	v_lshl_add_u32 v44, v152, 3, 0
	v_lshl_add_u32 v45, v153, 3, 0
	v_lshl_add_u32 v48, v154, 3, 0
	v_lshl_add_u32 v49, v155, 3, 0
	v_lshl_add_u32 v52, v156, 3, 0
	v_lshl_add_u32 v53, v157, 3, 0
	ds_write2_b64 v32, v[0:1], v[72:73] offset1:2
	ds_write2_b64 v33, v[28:29], v[74:75] offset1:2
	;; [unrolled: 1-line block ×10, first 2 shown]
	s_and_saveexec_b32 s1, s0
	s_cbranch_execz .LBB0_25
; %bb.24:
	v_fma_f64 v[0:1], v[88:89], 2.0, -v[2:3]
	v_and_or_b32 v28, 0x3fc, v86, v85
	v_lshl_add_u32 v28, v28, 3, 0
	ds_write2_b64 v28, v[0:1], v[2:3] offset1:2
.LBB0_25:
	s_or_b32 exec_lo, exec_lo, s1
	v_mul_f64 v[0:1], v[96:97], v[14:15]
	v_mul_f64 v[28:29], v[98:99], v[14:15]
	;; [unrolled: 1-line block ×11, first 2 shown]
	s_waitcnt lgkmcnt(0)
	s_barrier
	buffer_gl0_inv
	v_add_nc_u32_e32 v132, 0x1000, v130
	v_add_nc_u32_e32 v133, 0x800, v130
	;; [unrolled: 1-line block ×3, first 2 shown]
	v_fma_f64 v[76:77], v[4:5], v[12:13], v[0:1]
	v_fma_f64 v[6:7], v[6:7], v[12:13], v[28:29]
	;; [unrolled: 1-line block ×10, first 2 shown]
	ds_read_b64 v[4:5], v130
	ds_read_b64 v[74:75], v84
	;; [unrolled: 1-line block ×3, first 2 shown]
	v_add_f64 v[56:57], v[38:39], -v[76:77]
	v_add_f64 v[60:61], v[42:43], -v[6:7]
	v_fma_f64 v[6:7], v[36:37], v[12:13], v[14:15]
	v_add_f64 v[87:88], v[46:47], -v[8:9]
	v_add_f64 v[89:90], v[50:51], -v[10:11]
	;; [unrolled: 1-line block ×8, first 2 shown]
	ds_read_b64 v[70:71], v124
	ds_read_b64 v[68:69], v134
	;; [unrolled: 1-line block ×5, first 2 shown]
	ds_read_b64 v[76:77], v130 offset:7040
	ds_read2_b64 v[28:31], v132 offset0:104 offset1:148
	ds_read2_b64 v[24:27], v133 offset0:96 offset1:140
	;; [unrolled: 1-line block ×6, first 2 shown]
	s_waitcnt lgkmcnt(0)
	s_barrier
	buffer_gl0_inv
	v_fma_f64 v[36:37], v[38:39], 2.0, -v[56:57]
	v_fma_f64 v[38:39], v[42:43], 2.0, -v[60:61]
	v_add_f64 v[6:7], v[34:35], -v[6:7]
	v_fma_f64 v[42:43], v[46:47], 2.0, -v[87:88]
	v_fma_f64 v[46:47], v[50:51], 2.0, -v[89:90]
	;; [unrolled: 1-line block ×8, first 2 shown]
	ds_write2_b64 v32, v[36:37], v[56:57] offset1:2
	ds_write2_b64 v33, v[38:39], v[60:61] offset1:2
	;; [unrolled: 1-line block ×10, first 2 shown]
	s_and_saveexec_b32 s1, s0
	s_cbranch_execz .LBB0_27
; %bb.26:
	v_fma_f64 v[32:33], v[34:35], 2.0, -v[6:7]
	v_and_or_b32 v34, 0x3fc, v86, v85
	v_lshl_add_u32 v34, v34, 3, 0
	ds_write2_b64 v34, v[32:33], v[6:7] offset1:2
.LBB0_27:
	s_or_b32 exec_lo, exec_lo, s1
	v_and_b32_e32 v99, 3, v128
	s_waitcnt lgkmcnt(0)
	s_barrier
	buffer_gl0_inv
	v_and_b32_e32 v108, 0xff, v128
	v_lshlrev_b32_e32 v36, 5, v99
	v_lshrrev_b32_e32 v102, 2, v129
	v_lshrrev_b32_e32 v103, 2, v116
	;; [unrolled: 1-line block ×4, first 2 shown]
	s_clause 0x1
	global_load_dwordx4 v[32:35], v36, s[8:9] offset:48
	global_load_dwordx4 v[36:39], v36, s[8:9] offset:32
	v_lshrrev_b32_e32 v106, 2, v119
	v_lshrrev_b32_e32 v107, 2, v120
	v_and_b32_e32 v109, 0xff, v129
	v_lshrrev_b32_e32 v101, 2, v128
	v_mul_lo_u16 v108, 0xab, v108
	v_mul_lo_u32 v102, v102, 12
	v_mul_lo_u32 v103, v103, 12
	;; [unrolled: 1-line block ×6, first 2 shown]
	v_mul_lo_u16 v109, 0xab, v109
	v_and_b32_e32 v110, 0xff, v116
	v_mul_u32_u24_e32 v101, 12, v101
	v_lshrrev_b16 v137, 11, v108
	v_or_b32_e32 v102, v102, v99
	v_lshrrev_b16 v136, 11, v109
	v_mul_lo_u16 v110, 0xab, v110
	v_or_b32_e32 v101, v101, v99
	v_or_b32_e32 v103, v103, v99
	;; [unrolled: 1-line block ×6, first 2 shown]
	v_mul_lo_u16 v107, v137, 12
	v_mul_lo_u16 v108, v136, 12
	ds_read_b64 v[86:87], v130
	ds_read_b64 v[94:95], v84
	ds_read2_b64 v[60:63], v132 offset0:104 offset1:148
	ds_read2_b64 v[56:59], v133 offset0:96 offset1:140
	;; [unrolled: 1-line block ×6, first 2 shown]
	ds_read_b64 v[84:85], v124
	ds_read_b64 v[82:83], v134
	;; [unrolled: 1-line block ×6, first 2 shown]
	ds_read_b64 v[92:93], v130 offset:7040
	v_mov_b32_e32 v100, 6
	v_lshrrev_b16 v135, 11, v110
	v_sub_nc_u16 v138, v128, v107
	v_sub_nc_u16 v127, v129, v108
	v_lshl_add_u32 v111, v101, 3, 0
	v_lshl_add_u32 v120, v102, 3, 0
	v_mul_lo_u16 v101, v135, 12
	v_mul_u32_u24_sdwa v102, v138, v100 dst_sel:DWORD dst_unused:UNUSED_PAD src0_sel:BYTE_0 src1_sel:DWORD
	v_lshl_add_u32 v125, v103, 3, 0
	v_mul_u32_u24_sdwa v103, v127, v100 dst_sel:DWORD dst_unused:UNUSED_PAD src0_sel:BYTE_0 src1_sel:DWORD
	v_lshl_add_u32 v178, v105, 3, 0
	v_sub_nc_u16 v126, v116, v101
	v_lshlrev_b32_e32 v180, 4, v102
	v_lshl_add_u32 v179, v106, 3, 0
	v_lshl_add_u32 v177, v104, 3, 0
	v_lshlrev_b32_e32 v181, 4, v103
	s_mov_b32 s0, 0xe8584caa
	s_mov_b32 s1, 0x3febb67a
	;; [unrolled: 1-line block ×4, first 2 shown]
	v_add_nc_u32_e32 v134, 0xc00, v130
	v_add_nc_u32_e32 v97, 0x1400, v130
	s_waitcnt vmcnt(0) lgkmcnt(0)
	s_barrier
	buffer_gl0_inv
	v_lshl_add_u32 v99, v99, 3, 0
	v_add_nc_u32_e32 v98, 0x400, v130
	s_mov_b32 s12, 0xe976ee23
	s_mov_b32 s16, 0x429ad128
	;; [unrolled: 1-line block ×18, first 2 shown]
	v_mul_f64 v[101:102], v[60:61], v[34:35]
	v_mul_f64 v[141:142], v[94:95], v[38:39]
	;; [unrolled: 1-line block ×28, first 2 shown]
	v_fma_f64 v[28:29], v[28:29], v[32:33], -v[101:102]
	v_fma_f64 v[74:75], v[74:75], v[36:37], -v[141:142]
	v_fma_f64 v[60:61], v[60:61], v[32:33], v[105:106]
	v_fma_f64 v[94:95], v[94:95], v[36:37], v[143:144]
	v_fma_f64 v[30:31], v[30:31], v[32:33], -v[103:104]
	v_fma_f64 v[24:25], v[24:25], v[36:37], -v[109:110]
	v_fma_f64 v[62:63], v[62:63], v[32:33], v[107:108]
	v_fma_f64 v[56:57], v[56:57], v[36:37], v[118:119]
	;; [unrolled: 4-line block ×6, first 2 shown]
	v_fma_f64 v[18:19], v[18:19], v[36:37], -v[173:174]
	v_fma_f64 v[36:37], v[42:43], v[36:37], v[38:39]
	v_fma_f64 v[38:39], v[76:77], v[32:33], -v[175:176]
	v_fma_f64 v[32:33], v[92:93], v[32:33], v[34:35]
	v_add_f64 v[42:43], v[74:75], v[28:29]
	v_add_f64 v[76:77], v[94:95], -v[60:61]
	v_add_f64 v[92:93], v[86:87], v[94:95]
	v_add_f64 v[94:95], v[94:95], v[60:61]
	v_add_f64 v[34:35], v[4:5], v[74:75]
	v_add_f64 v[103:104], v[24:25], v[30:31]
	v_add_f64 v[105:106], v[56:57], -v[62:63]
	v_add_f64 v[107:108], v[90:91], v[56:57]
	v_add_f64 v[56:57], v[56:57], v[62:63]
	v_add_f64 v[116:117], v[26:27], v[12:13]
	v_add_f64 v[118:119], v[58:59], -v[52:53]
	v_add_f64 v[139:140], v[88:89], v[58:59]
	v_add_f64 v[58:59], v[58:59], v[52:53]
	v_add_f64 v[143:144], v[8:9], v[14:15]
	;; [unrolled: 4-line block ×5, first 2 shown]
	v_add_f64 v[171:172], v[36:37], v[32:33]
	v_fma_f64 v[4:5], v[42:43], -0.5, v[4:5]
	v_add_f64 v[74:75], v[74:75], -v[28:29]
	v_fma_f64 v[42:43], v[94:95], -0.5, v[86:87]
	v_add_f64 v[101:102], v[72:73], v[24:25]
	v_add_f64 v[28:29], v[34:35], v[28:29]
	;; [unrolled: 1-line block ×3, first 2 shown]
	v_fma_f64 v[60:61], v[103:104], -0.5, v[72:73]
	v_add_f64 v[24:25], v[24:25], -v[30:31]
	v_fma_f64 v[56:57], v[56:57], -0.5, v[90:91]
	v_add_f64 v[109:110], v[0:1], v[26:27]
	v_fma_f64 v[0:1], v[116:117], -0.5, v[0:1]
	v_add_f64 v[26:27], v[26:27], -v[12:13]
	v_add_f64 v[72:73], v[139:140], v[52:53]
	v_fma_f64 v[52:53], v[58:59], -0.5, v[88:89]
	v_add_f64 v[141:142], v[70:71], v[8:9]
	v_fma_f64 v[58:59], v[143:144], -0.5, v[70:71]
	v_add_f64 v[8:9], v[8:9], -v[14:15]
	v_fma_f64 v[48:49], v[48:49], -0.5, v[84:85]
	v_add_f64 v[149:150], v[68:69], v[10:11]
	v_add_f64 v[70:71], v[147:148], v[54:55]
	v_fma_f64 v[54:55], v[151:152], -0.5, v[68:69]
	v_add_f64 v[10:11], v[10:11], -v[20:21]
	v_add_f64 v[68:69], v[155:156], v[44:45]
	v_fma_f64 v[44:45], v[50:51], -0.5, v[82:83]
	v_add_f64 v[157:158], v[66:67], v[16:17]
	v_fma_f64 v[50:51], v[159:160], -0.5, v[66:67]
	v_add_f64 v[16:17], v[16:17], -v[22:23]
	v_fma_f64 v[40:41], v[40:41], -0.5, v[80:81]
	v_add_f64 v[165:166], v[64:65], v[18:19]
	v_add_f64 v[169:170], v[78:79], v[36:37]
	v_add_f64 v[36:37], v[36:37], -v[32:33]
	v_add_f64 v[66:67], v[163:164], v[46:47]
	v_fma_f64 v[46:47], v[167:168], -0.5, v[64:65]
	v_add_f64 v[18:19], v[18:19], -v[38:39]
	v_fma_f64 v[64:65], v[171:172], -0.5, v[78:79]
	v_fma_f64 v[78:79], v[76:77], s[0:1], v[4:5]
	v_fma_f64 v[4:5], v[76:77], s[6:7], v[4:5]
	;; [unrolled: 1-line block ×3, first 2 shown]
	v_add_f64 v[30:31], v[101:102], v[30:31]
	v_fma_f64 v[74:75], v[74:75], s[0:1], v[42:43]
	v_fma_f64 v[42:43], v[105:106], s[0:1], v[60:61]
	v_add_f64 v[62:63], v[107:108], v[62:63]
	v_fma_f64 v[60:61], v[105:106], s[6:7], v[60:61]
	v_fma_f64 v[80:81], v[24:25], s[6:7], v[56:57]
	;; [unrolled: 3-line block ×3, first 2 shown]
	v_fma_f64 v[0:1], v[118:119], s[6:7], v[0:1]
	v_fma_f64 v[82:83], v[26:27], s[6:7], v[52:53]
	v_add_f64 v[14:15], v[141:142], v[14:15]
	v_fma_f64 v[26:27], v[26:27], s[0:1], v[52:53]
	v_fma_f64 v[52:53], v[145:146], s[0:1], v[58:59]
	v_fma_f64 v[58:59], v[145:146], s[6:7], v[58:59]
	v_fma_f64 v[90:91], v[8:9], s[6:7], v[48:49]
	v_add_f64 v[20:21], v[149:150], v[20:21]
	v_fma_f64 v[84:85], v[153:154], s[0:1], v[54:55]
	v_fma_f64 v[92:93], v[8:9], s[0:1], v[48:49]
	;; [unrolled: 5-line block ×4, first 2 shown]
	v_add_f64 v[32:33], v[169:170], v[32:33]
	v_fma_f64 v[36:37], v[36:37], s[6:7], v[46:47]
	v_fma_f64 v[107:108], v[18:19], s[6:7], v[64:65]
	;; [unrolled: 1-line block ×3, first 2 shown]
	ds_write2_b64 v111, v[28:29], v[78:79] offset1:4
	ds_write_b64 v111, v[4:5] offset:64
	ds_write2_b64 v120, v[30:31], v[42:43] offset1:4
	ds_write_b64 v120, v[60:61] offset:64
	;; [unrolled: 2-line block ×7, first 2 shown]
	v_mul_u32_u24_sdwa v4, v126, v100 dst_sel:DWORD dst_unused:UNUSED_PAD src0_sel:BYTE_0 src1_sel:DWORD
	s_waitcnt lgkmcnt(0)
	s_barrier
	buffer_gl0_inv
	ds_read2_b64 v[8:11], v130 offset1:176
	ds_read_b64 v[22:23], v123
	ds_read2_b64 v[14:17], v134 offset0:100 offset1:144
	ds_read2_b64 v[18:21], v132 offset0:148 offset1:192
	;; [unrolled: 1-line block ×3, first 2 shown]
	ds_read_b64 v[0:1], v131
	ds_read2_b64 v[44:47], v98 offset0:92 offset1:180
	ds_read2_b64 v[48:51], v133 offset0:96 offset1:184
	;; [unrolled: 1-line block ×4, first 2 shown]
	ds_read_b64 v[78:79], v122
	ds_read_b64 v[88:89], v124
	;; [unrolled: 1-line block ×3, first 2 shown]
	s_waitcnt lgkmcnt(0)
	s_barrier
	buffer_gl0_inv
	ds_write2_b64 v111, v[34:35], v[76:77] offset1:4
	ds_write_b64 v111, v[74:75] offset:64
	ds_write2_b64 v120, v[62:63], v[80:81] offset1:4
	ds_write_b64 v120, v[24:25] offset:64
	;; [unrolled: 2-line block ×7, first 2 shown]
	s_waitcnt lgkmcnt(0)
	s_barrier
	buffer_gl0_inv
	s_clause 0x3
	global_load_dwordx4 v[28:31], v180, s[8:9] offset:224
	global_load_dwordx4 v[32:35], v181, s[8:9] offset:224
	;; [unrolled: 1-line block ×4, first 2 shown]
	v_lshlrev_b32_e32 v4, 4, v4
	s_clause 0xd
	global_load_dwordx4 v[66:69], v180, s[8:9] offset:192
	global_load_dwordx4 v[74:77], v181, s[8:9] offset:192
	;; [unrolled: 1-line block ×14, first 2 shown]
	ds_read2_b64 v[70:73], v132 offset0:148 offset1:192
	ds_read_b64 v[64:65], v124
	ds_read_b64 v[94:95], v122
	;; [unrolled: 1-line block ×3, first 2 shown]
	ds_read2_b64 v[108:111], v133 offset0:96 offset1:184
	ds_read2_b64 v[163:166], v134 offset0:100 offset1:144
	;; [unrolled: 1-line block ×5, first 2 shown]
	ds_read2_b64 v[24:27], v130 offset1:176
	ds_read2_b64 v[179:182], v96 offset0:68 offset1:112
	ds_read_b64 v[4:5], v121
	s_mov_b32 s6, 0x37e14327
	s_mov_b32 s7, 0x3fe948f6
	v_cmp_gt_u32_e64 s0, 40, v128
	s_waitcnt vmcnt(13) lgkmcnt(8)
	v_mul_f64 v[187:188], v[124:125], v[68:69]
	v_mul_f64 v[189:190], v[22:23], v[68:69]
	s_waitcnt vmcnt(12) lgkmcnt(7)
	v_mul_f64 v[191:192], v[110:111], v[76:77]
	v_mul_f64 v[193:194], v[50:51], v[76:77]
	s_waitcnt vmcnt(9) lgkmcnt(5)
	v_mul_f64 v[68:69], v[169:170], v[92:93]
	s_waitcnt vmcnt(8) lgkmcnt(4)
	v_mul_f64 v[199:200], v[173:174], v[101:102]
	v_mul_f64 v[195:196], v[108:109], v[82:83]
	v_mul_f64 v[96:97], v[70:71], v[30:31]
	v_mul_f64 v[122:123], v[18:19], v[30:31]
	v_mul_f64 v[183:184], v[72:73], v[34:35]
	v_mul_f64 v[34:35], v[20:21], v[34:35]
	v_mul_f64 v[120:121], v[64:65], v[38:39]
	v_mul_f64 v[38:39], v[88:89], v[38:39]
	v_mul_f64 v[185:186], v[94:95], v[62:63]
	s_waitcnt vmcnt(4) lgkmcnt(2)
	v_mul_f64 v[209:210], v[26:27], v[145:146]
	s_waitcnt vmcnt(3) lgkmcnt(1)
	v_mul_f64 v[211:212], v[179:180], v[149:150]
	v_mul_f64 v[205:206], v[171:172], v[141:142]
	v_mul_f64 v[207:208], v[167:168], v[118:119]
	s_waitcnt vmcnt(1)
	v_mul_f64 v[215:216], v[181:182], v[157:158]
	v_mul_f64 v[62:63], v[78:79], v[62:63]
	;; [unrolled: 1-line block ×11, first 2 shown]
	v_fma_f64 v[30:31], v[18:19], v[28:29], -v[96:97]
	v_fma_f64 v[118:119], v[70:71], v[28:29], v[122:123]
	v_fma_f64 v[28:29], v[20:21], v[32:33], -v[183:184]
	v_fma_f64 v[106:107], v[72:73], v[32:33], v[34:35]
	;; [unrolled: 2-line block ×3, first 2 shown]
	v_fma_f64 v[34:35], v[42:43], v[90:91], -v[68:69]
	v_fma_f64 v[64:65], v[78:79], v[60:61], -v[185:186]
	v_mul_f64 v[149:150], v[56:57], v[149:150]
	v_fma_f64 v[36:37], v[10:11], v[143:144], -v[209:210]
	v_fma_f64 v[38:39], v[56:57], v[147:148], -v[211:212]
	;; [unrolled: 1-line block ×3, first 2 shown]
	v_mul_f64 v[213:214], v[14:15], v[153:154]
	v_mul_f64 v[141:142], v[44:45], v[141:142]
	s_waitcnt vmcnt(0)
	v_mul_f64 v[219:220], v[54:55], v[161:162]
	v_mul_f64 v[153:154], v[163:164], v[153:154]
	;; [unrolled: 1-line block ×4, first 2 shown]
	v_fma_f64 v[68:69], v[22:23], v[66:67], -v[187:188]
	v_fma_f64 v[76:77], v[124:125], v[66:67], v[189:190]
	v_fma_f64 v[72:73], v[50:51], v[74:75], -v[191:192]
	v_fma_f64 v[78:79], v[110:111], v[74:75], v[193:194]
	v_fma_f64 v[66:67], v[48:49], v[80:81], -v[195:196]
	v_fma_f64 v[44:45], v[44:45], v[139:140], -v[205:206]
	;; [unrolled: 1-line block ×4, first 2 shown]
	v_fma_f64 v[122:123], v[94:95], v[60:61], v[62:63]
	v_fma_f64 v[88:89], v[16:17], v[84:85], -v[197:198]
	v_fma_f64 v[96:97], v[165:166], v[84:85], v[86:87]
	v_fma_f64 v[124:125], v[169:170], v[90:91], v[92:93]
	v_add_f64 v[10:11], v[32:33], v[34:35]
	v_add_f64 v[16:17], v[64:65], v[30:31]
	v_fma_f64 v[94:95], v[108:109], v[80:81], v[82:83]
	v_fma_f64 v[108:109], v[173:174], v[99:100], v[101:102]
	v_fma_f64 v[86:87], v[52:53], v[103:104], -v[201:202]
	v_fma_f64 v[92:93], v[175:176], v[103:104], v[203:204]
	v_fma_f64 v[100:101], v[167:168], v[116:117], v[217:218]
	;; [unrolled: 1-line block ×4, first 2 shown]
	v_add_f64 v[18:19], v[36:37], v[38:39]
	v_add_f64 v[20:21], v[70:71], v[28:29]
	v_fma_f64 v[82:83], v[163:164], v[151:152], v[213:214]
	v_fma_f64 v[90:91], v[177:178], v[159:160], v[219:220]
	v_fma_f64 v[102:103], v[171:172], v[139:140], v[141:142]
	v_fma_f64 v[26:27], v[14:15], v[151:152], -v[153:154]
	v_fma_f64 v[98:99], v[54:55], v[159:160], -v[161:162]
	v_fma_f64 v[104:105], v[181:182], v[155:156], v[157:158]
	v_add_f64 v[14:15], v[44:45], v[46:47]
	v_add_f64 v[22:23], v[66:67], v[74:75]
	;; [unrolled: 1-line block ×3, first 2 shown]
	v_add_f64 v[42:43], v[122:123], -v[118:119]
	v_add_f64 v[48:49], v[96:97], -v[76:77]
	;; [unrolled: 1-line block ×3, first 2 shown]
	v_add_f64 v[52:53], v[16:17], v[10:11]
	v_add_f64 v[56:57], v[108:109], -v[106:107]
	v_add_f64 v[54:55], v[72:73], v[86:87]
	v_add_f64 v[58:59], v[92:93], -v[78:79]
	v_add_f64 v[60:61], v[94:95], -v[100:101]
	v_add_f64 v[62:63], v[110:111], -v[116:117]
	v_add_f64 v[80:81], v[20:21], v[18:19]
	v_add_f64 v[84:85], v[90:91], -v[82:83]
	v_add_f64 v[139:140], v[26:27], v[98:99]
	v_add_f64 v[141:142], v[102:103], -v[104:105]
	v_add_f64 v[143:144], v[22:23], v[14:15]
	v_add_f64 v[145:146], v[10:11], -v[40:41]
	v_add_f64 v[147:148], v[40:41], -v[16:17]
	v_add_f64 v[149:150], v[48:49], -v[42:43]
	;; [unrolled: 1-line block ×3, first 2 shown]
	v_add_f64 v[40:41], v[40:41], v[52:53]
	v_add_f64 v[42:43], v[48:49], v[42:43]
	v_add_f64 v[10:11], v[16:17], -v[10:11]
	v_add_f64 v[52:53], v[18:19], -v[54:55]
	;; [unrolled: 1-line block ×6, first 2 shown]
	v_add_f64 v[56:57], v[58:59], v[56:57]
	v_add_f64 v[54:55], v[54:55], v[80:81]
	v_add_f64 v[18:19], v[20:21], -v[18:19]
	v_add_f64 v[80:81], v[84:85], -v[60:61]
	;; [unrolled: 1-line block ×5, first 2 shown]
	v_add_f64 v[60:61], v[84:85], v[60:61]
	v_add_f64 v[143:144], v[139:140], v[143:144]
	v_add_f64 v[139:140], v[139:140], -v[22:23]
	v_mul_f64 v[145:146], v[145:146], s[6:7]
	v_mul_f64 v[20:21], v[149:150], s[12:13]
	;; [unrolled: 1-line block ×3, first 2 shown]
	v_add_f64 v[163:164], v[8:9], v[40:41]
	v_mul_f64 v[161:162], v[147:148], s[10:11]
	v_add_f64 v[14:15], v[22:23], -v[14:15]
	v_mul_f64 v[52:53], v[52:53], s[6:7]
	v_mul_f64 v[165:166], v[153:154], s[10:11]
	;; [unrolled: 1-line block ×3, first 2 shown]
	v_add_f64 v[42:43], v[42:43], v[50:51]
	v_mul_f64 v[22:23], v[157:158], s[16:17]
	v_add_f64 v[167:168], v[0:1], v[54:55]
	v_add_f64 v[0:1], v[141:142], -v[84:85]
	v_mul_f64 v[80:81], v[80:81], s[12:13]
	v_mul_f64 v[16:17], v[16:17], s[6:7]
	;; [unrolled: 1-line block ×3, first 2 shown]
	v_add_f64 v[60:61], v[60:61], v[141:142]
	v_add_f64 v[8:9], v[12:13], v[143:144]
	;; [unrolled: 1-line block ×3, first 2 shown]
	v_mul_f64 v[56:57], v[139:140], s[10:11]
	v_fma_f64 v[62:63], v[147:148], s[10:11], v[145:146]
	v_fma_f64 v[141:142], v[48:49], s[22:23], v[20:21]
	v_fma_f64 v[20:21], v[151:152], s[16:17], -v[20:21]
	v_fma_f64 v[48:49], v[48:49], s[24:25], -v[149:150]
	v_fma_f64 v[40:41], v[40:41], s[26:27], v[163:164]
	v_fma_f64 v[84:85], v[10:11], s[18:19], -v[161:162]
	v_fma_f64 v[10:11], v[10:11], s[20:21], -v[145:146]
	v_fma_f64 v[145:146], v[153:154], s[10:11], v[52:53]
	v_fma_f64 v[149:150], v[58:59], s[22:23], v[155:156]
	v_fma_f64 v[151:152], v[157:158], s[16:17], -v[155:156]
	v_fma_f64 v[22:23], v[58:59], s[24:25], -v[22:23]
	v_fma_f64 v[54:55], v[54:55], s[26:27], v[167:168]
	v_fma_f64 v[147:148], v[18:19], s[18:19], -v[165:166]
	v_fma_f64 v[18:19], v[18:19], s[20:21], -v[52:53]
	;; [unrolled: 1-line block ×3, first 2 shown]
	v_fma_f64 v[58:59], v[0:1], s[22:23], v[80:81]
	v_fma_f64 v[80:81], v[139:140], s[10:11], v[16:17]
	v_fma_f64 v[0:1], v[0:1], s[24:25], -v[50:51]
	v_fma_f64 v[16:17], v[14:15], s[20:21], -v[16:17]
	v_fma_f64 v[50:51], v[143:144], s[26:27], v[8:9]
	v_mov_b32_e32 v143, 0x2a0
	v_fma_f64 v[14:15], v[14:15], s[18:19], -v[56:57]
	v_fma_f64 v[56:57], v[42:43], s[28:29], v[141:142]
	v_fma_f64 v[20:21], v[42:43], s[28:29], v[20:21]
	;; [unrolled: 1-line block ×3, first 2 shown]
	v_add_f64 v[48:49], v[62:63], v[40:41]
	v_mul_u32_u24_sdwa v137, v137, v143 dst_sel:DWORD dst_unused:UNUSED_PAD src0_sel:WORD_0 src1_sel:DWORD
	v_add_f64 v[10:11], v[10:11], v[40:41]
	v_add_f64 v[40:41], v[84:85], v[40:41]
	v_fma_f64 v[62:63], v[12:13], s[28:29], v[149:150]
	v_fma_f64 v[84:85], v[12:13], s[28:29], v[151:152]
	;; [unrolled: 1-line block ×3, first 2 shown]
	v_add_f64 v[22:23], v[145:146], v[54:55]
	v_mul_u32_u24_sdwa v136, v136, v143 dst_sel:DWORD dst_unused:UNUSED_PAD src0_sel:WORD_0 src1_sel:DWORD
	v_add_f64 v[18:19], v[18:19], v[54:55]
	v_add_f64 v[54:55], v[147:148], v[54:55]
	v_fma_f64 v[58:59], v[60:61], s[28:29], v[58:59]
	v_fma_f64 v[52:53], v[60:61], s[28:29], v[52:53]
	;; [unrolled: 1-line block ×3, first 2 shown]
	v_mul_u32_u24_sdwa v135, v135, v143 dst_sel:DWORD dst_unused:UNUSED_PAD src0_sel:WORD_0 src1_sel:DWORD
	v_add_f64 v[60:61], v[80:81], v[50:51]
	v_add_f64 v[139:140], v[16:17], v[50:51]
	;; [unrolled: 1-line block ×3, first 2 shown]
	v_mov_b32_e32 v149, 3
	v_add_f64 v[50:51], v[56:57], v[48:49]
	v_add_f64 v[48:49], v[48:49], -v[56:57]
	v_add_f64 v[141:142], v[42:43], v[10:11]
	v_add_f64 v[143:144], v[40:41], -v[20:21]
	;; [unrolled: 2-line block ×3, first 2 shown]
	v_lshlrev_b32_sdwa v138, v149, v138 dst_sel:DWORD dst_unused:UNUSED_PAD src0_sel:DWORD src1_sel:BYTE_0
	v_add_f64 v[56:57], v[62:63], v[22:23]
	v_add_f64 v[22:23], v[22:23], -v[62:63]
	v_add_f64 v[145:146], v[12:13], v[18:19]
	v_add_f64 v[147:148], v[54:55], -v[84:85]
	;; [unrolled: 2-line block ×3, first 2 shown]
	v_lshlrev_b32_sdwa v127, v149, v127 dst_sel:DWORD dst_unused:UNUSED_PAD src0_sel:DWORD src1_sel:BYTE_0
	v_add3_u32 v137, 0, v137, v138
	v_add_f64 v[10:11], v[58:59], v[60:61]
	v_add_f64 v[16:17], v[0:1], v[139:140]
	v_add_f64 v[18:19], v[14:15], -v[52:53]
	v_add_f64 v[12:13], v[52:53], v[14:15]
	v_add_f64 v[14:15], v[139:140], -v[0:1]
	v_add_f64 v[0:1], v[60:61], -v[58:59]
	v_lshlrev_b32_sdwa v52, v149, v126 dst_sel:DWORD dst_unused:UNUSED_PAD src0_sel:DWORD src1_sel:BYTE_0
	v_add3_u32 v136, 0, v136, v127
	ds_read_b64 v[126:127], v131
	s_waitcnt lgkmcnt(0)
	s_barrier
	v_add3_u32 v135, 0, v135, v52
	buffer_gl0_inv
	ds_write2_b64 v137, v[163:164], v[50:51] offset1:12
	ds_write2_b64 v137, v[141:142], v[143:144] offset0:24 offset1:36
	ds_write2_b64 v137, v[40:41], v[42:43] offset0:48 offset1:60
	ds_write_b64 v137, v[48:49] offset:576
	ds_write2_b64 v136, v[167:168], v[56:57] offset1:12
	ds_write2_b64 v136, v[145:146], v[147:148] offset0:24 offset1:36
	ds_write2_b64 v136, v[80:81], v[20:21] offset0:48 offset1:60
	ds_write_b64 v136, v[22:23] offset:576
	;; [unrolled: 4-line block ×3, first 2 shown]
	s_waitcnt lgkmcnt(0)
	s_barrier
	buffer_gl0_inv
	ds_read2_b64 v[40:43], v130 offset1:84
	ds_read2_b64 v[52:55], v130 offset0:168 offset1:252
	ds_read2_b64 v[60:63], v133 offset0:80 offset1:164
	;; [unrolled: 1-line block ×4, first 2 shown]
	ds_read_b64 v[84:85], v130 offset:6720
	s_and_saveexec_b32 s1, s0
	s_cbranch_execz .LBB0_29
; %bb.28:
	v_add_nc_u32_e32 v0, 0x800, v130
	v_add_nc_u32_e32 v1, 0x1000, v130
	;; [unrolled: 1-line block ×3, first 2 shown]
	ds_read_b64 v[80:81], v131
	ds_read2_b64 v[20:23], v130 offset0:128 offset1:212
	ds_read2_b64 v[8:11], v0 offset0:40 offset1:124
	;; [unrolled: 1-line block ×5, first 2 shown]
.LBB0_29:
	s_or_b32 exec_lo, exec_lo, s1
	v_add_f64 v[120:121], v[120:121], v[124:125]
	v_add_f64 v[118:119], v[122:123], v[118:119]
	;; [unrolled: 1-line block ×7, first 2 shown]
	v_add_f64 v[30:31], v[64:65], -v[30:31]
	v_add_f64 v[64:65], v[88:89], -v[68:69]
	;; [unrolled: 1-line block ×3, first 2 shown]
	v_add_f64 v[68:69], v[78:79], v[92:93]
	v_add_f64 v[28:29], v[70:71], -v[28:29]
	v_add_f64 v[70:71], v[86:87], -v[72:73]
	;; [unrolled: 1-line block ×4, first 2 shown]
	v_add_f64 v[72:73], v[82:83], v[90:91]
	v_add_f64 v[26:27], v[98:99], -v[26:27]
	v_add_f64 v[44:45], v[44:45], -v[46:47]
	s_waitcnt lgkmcnt(0)
	s_barrier
	buffer_gl0_inv
	v_add_f64 v[34:35], v[118:119], v[120:121]
	v_add_f64 v[92:93], v[118:119], -v[120:121]
	v_add_f64 v[38:39], v[106:107], v[110:111]
	v_add_f64 v[46:47], v[94:95], v[102:103]
	v_add_f64 v[74:75], v[120:121], -v[76:77]
	v_add_f64 v[78:79], v[76:77], -v[118:119]
	;; [unrolled: 1-line block ×5, first 2 shown]
	v_add_f64 v[30:31], v[64:65], v[30:31]
	v_add_f64 v[90:91], v[70:71], -v[28:29]
	v_add_f64 v[96:97], v[28:29], -v[36:37]
	v_add_f64 v[28:29], v[70:71], v[28:29]
	v_add_f64 v[64:65], v[32:33], -v[64:65]
	v_add_f64 v[98:99], v[26:27], -v[66:67]
	v_add_f64 v[100:101], v[66:67], -v[44:45]
	v_add_f64 v[66:67], v[26:27], v[66:67]
	v_add_f64 v[106:107], v[106:107], -v[110:111]
	;; [unrolled: 4-line block ×3, first 2 shown]
	v_add_f64 v[38:39], v[68:69], v[38:39]
	v_add_f64 v[68:69], v[102:103], -v[72:73]
	v_add_f64 v[46:47], v[72:73], v[46:47]
	v_add_f64 v[72:73], v[72:73], -v[94:95]
	v_mul_f64 v[74:75], v[74:75], s[6:7]
	v_mul_f64 v[82:83], v[82:83], s[12:13]
	;; [unrolled: 1-line block ×4, first 2 shown]
	v_add_f64 v[94:95], v[94:95], -v[102:103]
	v_mul_f64 v[90:91], v[90:91], s[12:13]
	v_mul_f64 v[102:103], v[96:97], s[16:17]
	;; [unrolled: 1-line block ×3, first 2 shown]
	v_add_f64 v[30:31], v[30:31], v[32:33]
	v_mul_f64 v[98:99], v[98:99], s[12:13]
	v_mul_f64 v[32:33], v[100:101], s[16:17]
	v_add_f64 v[110:111], v[24:25], v[34:35]
	v_mul_f64 v[76:77], v[76:77], s[6:7]
	v_add_f64 v[118:119], v[126:127], v[38:39]
	;; [unrolled: 2-line block ×3, first 2 shown]
	v_add_f64 v[4:5], v[28:29], v[36:37]
	v_mul_f64 v[28:29], v[72:73], s[10:11]
	v_add_f64 v[36:37], v[66:67], v[44:45]
	v_fma_f64 v[44:45], v[78:79], s[10:11], v[74:75]
	v_fma_f64 v[78:79], v[64:65], s[22:23], v[82:83]
	v_fma_f64 v[66:67], v[92:93], s[18:19], -v[104:105]
	v_fma_f64 v[74:75], v[92:93], s[20:21], -v[74:75]
	;; [unrolled: 1-line block ×4, first 2 shown]
	v_fma_f64 v[92:93], v[70:71], s[22:23], v[90:91]
	v_fma_f64 v[90:91], v[96:97], s[16:17], -v[90:91]
	v_fma_f64 v[70:71], v[70:71], s[24:25], -v[102:103]
	v_fma_f64 v[96:97], v[26:27], s[22:23], v[98:99]
	v_fma_f64 v[26:27], v[26:27], s[24:25], -v[32:33]
	v_fma_f64 v[98:99], v[100:101], s[16:17], -v[98:99]
	v_fma_f64 v[34:35], v[34:35], s[26:27], v[110:111]
	v_fma_f64 v[86:87], v[88:89], s[10:11], v[76:77]
	;; [unrolled: 1-line block ×3, first 2 shown]
	v_fma_f64 v[88:89], v[106:107], s[18:19], -v[116:117]
	v_fma_f64 v[76:77], v[106:107], s[20:21], -v[76:77]
	v_fma_f64 v[72:73], v[72:73], s[10:11], v[68:69]
	v_fma_f64 v[32:33], v[46:47], s[26:27], v[24:25]
	v_fma_f64 v[46:47], v[94:95], s[20:21], -v[68:69]
	v_fma_f64 v[28:29], v[94:95], s[18:19], -v[28:29]
	v_fma_f64 v[68:69], v[30:31], s[28:29], v[78:79]
	v_fma_f64 v[78:79], v[30:31], s[28:29], v[82:83]
	;; [unrolled: 1-line block ×3, first 2 shown]
	v_add_f64 v[44:45], v[44:45], v[34:35]
	v_add_f64 v[64:65], v[74:75], v[34:35]
	;; [unrolled: 1-line block ×3, first 2 shown]
	v_fma_f64 v[66:67], v[4:5], s[28:29], v[92:93]
	v_fma_f64 v[74:75], v[4:5], s[28:29], v[90:91]
	;; [unrolled: 1-line block ×3, first 2 shown]
	v_add_f64 v[70:71], v[86:87], v[38:39]
	v_add_f64 v[76:77], v[76:77], v[38:39]
	;; [unrolled: 1-line block ×3, first 2 shown]
	v_fma_f64 v[86:87], v[36:37], s[28:29], v[96:97]
	v_add_f64 v[72:73], v[72:73], v[32:33]
	v_fma_f64 v[88:89], v[36:37], s[28:29], v[98:99]
	v_fma_f64 v[90:91], v[36:37], s[28:29], v[26:27]
	v_add_f64 v[46:47], v[46:47], v[32:33]
	v_add_f64 v[28:29], v[28:29], v[32:33]
	v_add_f64 v[92:93], v[44:45], -v[68:69]
	v_add_f64 v[94:95], v[64:65], -v[30:31]
	v_add_f64 v[96:97], v[78:79], v[34:35]
	v_add_f64 v[78:79], v[34:35], -v[78:79]
	v_add_f64 v[64:65], v[30:31], v[64:65]
	v_add_f64 v[44:45], v[68:69], v[44:45]
	v_add_f64 v[68:69], v[70:71], -v[66:67]
	v_add_f64 v[98:99], v[76:77], -v[4:5]
	v_add_f64 v[100:101], v[74:75], v[38:39]
	v_add_f64 v[82:83], v[38:39], -v[74:75]
	;; [unrolled: 6-line block ×3, first 2 shown]
	v_add_f64 v[30:31], v[90:91], v[46:47]
	v_add_f64 v[4:5], v[86:87], v[72:73]
	v_add_nc_u32_e32 v86, 0x800, v130
	v_add_nc_u32_e32 v87, 0x1000, v130
	ds_write2_b64 v137, v[110:111], v[92:93] offset1:12
	ds_write2_b64 v137, v[94:95], v[96:97] offset0:24 offset1:36
	ds_write2_b64 v137, v[78:79], v[64:65] offset0:48 offset1:60
	ds_write_b64 v137, v[44:45] offset:576
	ds_write2_b64 v136, v[118:119], v[68:69] offset1:12
	ds_write2_b64 v136, v[98:99], v[100:101] offset0:24 offset1:36
	ds_write2_b64 v136, v[82:83], v[36:37] offset0:48 offset1:60
	ds_write_b64 v136, v[38:39] offset:576
	;; [unrolled: 4-line block ×3, first 2 shown]
	s_waitcnt lgkmcnt(0)
	s_barrier
	buffer_gl0_inv
	ds_read2_b64 v[44:47], v130 offset1:84
	ds_read2_b64 v[68:71], v130 offset0:168 offset1:252
	ds_read2_b64 v[76:79], v86 offset0:80 offset1:164
	;; [unrolled: 1-line block ×4, first 2 shown]
	ds_read_b64 v[96:97], v130 offset:6720
	s_and_saveexec_b32 s1, s0
	s_cbranch_execz .LBB0_31
; %bb.30:
	v_add_nc_u32_e32 v4, 0xc00, v130
	v_add_nc_u32_e32 v5, 0x1800, v130
	ds_read_b64 v[82:83], v131
	ds_read2_b64 v[36:39], v130 offset0:128 offset1:212
	ds_read2_b64 v[24:27], v86 offset0:40 offset1:124
	;; [unrolled: 1-line block ×5, first 2 shown]
.LBB0_31:
	s_or_b32 exec_lo, exec_lo, s1
	s_and_saveexec_b32 s1, vcc_lo
	s_cbranch_execz .LBB0_34
; %bb.32:
	v_mul_u32_u24_e32 v86, 10, v128
	s_mov_b32 s6, 0xd9c712b6
	s_mov_b32 s18, 0xf8bb580b
	;; [unrolled: 1-line block ×4, first 2 shown]
	v_lshlrev_b32_e32 v106, 4, v86
	s_mov_b32 s28, 0x8eee2c13
	s_mov_b32 s29, 0xbfed1bb4
	;; [unrolled: 1-line block ×4, first 2 shown]
	s_clause 0x1
	global_load_dwordx4 v[88:91], v106, s[8:9] offset:1376
	global_load_dwordx4 v[92:95], v106, s[8:9] offset:1392
	s_mov_b32 s24, 0x43842ef
	s_mov_b32 s25, 0x3fefac9e
	;; [unrolled: 1-line block ×18, first 2 shown]
	s_waitcnt vmcnt(1) lgkmcnt(3)
	v_mul_f64 v[86:87], v[78:79], v[88:89]
	v_mul_f64 v[78:79], v[78:79], v[90:91]
	v_fma_f64 v[86:87], v[62:63], v[90:91], v[86:87]
	v_fma_f64 v[62:63], v[62:63], v[88:89], -v[78:79]
	s_clause 0x1
	global_load_dwordx4 v[88:91], v106, s[8:9] offset:1360
	global_load_dwordx4 v[98:101], v106, s[8:9] offset:1344
	s_waitcnt vmcnt(1)
	v_mul_f64 v[78:79], v[76:77], v[88:89]
	v_mul_f64 v[102:103], v[76:77], v[90:91]
	v_fma_f64 v[76:77], v[60:61], v[90:91], v[78:79]
	v_fma_f64 v[78:79], v[60:61], v[88:89], -v[102:103]
	s_waitcnt lgkmcnt(2)
	v_mul_f64 v[60:61], v[72:73], v[92:93]
	v_fma_f64 v[88:89], v[56:57], v[94:95], v[60:61]
	v_mul_f64 v[60:61], v[72:73], v[94:95]
	v_fma_f64 v[72:73], v[56:57], v[92:93], -v[60:61]
	s_clause 0x1
	global_load_dwordx4 v[92:95], v106, s[8:9] offset:1408
	global_load_dwordx4 v[102:105], v106, s[8:9] offset:1424
	s_waitcnt vmcnt(1)
	v_mul_f64 v[56:57], v[74:75], v[92:93]
	v_mul_f64 v[60:61], v[74:75], v[94:95]
	v_fma_f64 v[90:91], v[58:59], v[94:95], v[56:57]
	v_mul_f64 v[56:57], v[70:71], v[98:99]
	v_fma_f64 v[92:93], v[58:59], v[92:93], -v[60:61]
	v_fma_f64 v[74:75], v[54:55], v[100:101], v[56:57]
	v_mul_f64 v[56:57], v[70:71], v[100:101]
	v_fma_f64 v[70:71], v[54:55], v[98:99], -v[56:57]
	s_clause 0x1
	global_load_dwordx4 v[58:61], v106, s[8:9] offset:1328
	global_load_dwordx4 v[54:57], v106, s[8:9] offset:1312
	s_waitcnt vmcnt(1)
	v_mul_f64 v[94:95], v[68:69], v[58:59]
	v_mul_f64 v[98:99], v[68:69], v[60:61]
	v_fma_f64 v[68:69], v[52:53], v[60:61], v[94:95]
	v_fma_f64 v[52:53], v[52:53], v[58:59], -v[98:99]
	s_waitcnt lgkmcnt(1)
	v_mul_f64 v[58:59], v[64:65], v[102:103]
	v_fma_f64 v[94:95], v[48:49], v[104:105], v[58:59]
	v_mul_f64 v[58:59], v[64:65], v[104:105]
	v_fma_f64 v[64:65], v[48:49], v[102:103], -v[58:59]
	s_clause 0x1
	global_load_dwordx4 v[98:101], v106, s[8:9] offset:1440
	global_load_dwordx4 v[58:61], v106, s[8:9] offset:1456
	s_waitcnt vmcnt(1)
	v_mul_f64 v[48:49], v[66:67], v[98:99]
	v_mul_f64 v[66:67], v[66:67], v[100:101]
	v_fma_f64 v[48:49], v[50:51], v[100:101], v[48:49]
	v_fma_f64 v[50:51], v[50:51], v[98:99], -v[66:67]
	s_waitcnt vmcnt(0) lgkmcnt(0)
	v_mul_f64 v[66:67], v[96:97], v[58:59]
	v_mul_f64 v[96:97], v[96:97], v[60:61]
	v_lshrrev_b32_e32 v98, 2, v128
	v_mul_hi_u32 v102, 0x30c30c31, v98
	v_fma_f64 v[98:99], v[84:85], v[60:61], v[66:67]
	v_fma_f64 v[100:101], v[84:85], v[58:59], -v[96:97]
	v_mul_f64 v[58:59], v[46:47], v[54:55]
	v_mul_f64 v[46:47], v[46:47], v[56:57]
	v_lshrrev_b32_e32 v60, 2, v102
	v_mul_lo_u32 v66, s5, v114
	v_mul_lo_u32 v67, s4, v115
	v_mul_lo_u32 v60, 0x54, v60
	v_sub_nc_u32_e32 v96, v128, v60
	v_mad_u64_u32 v[60:61], null, s4, v114, 0
	s_mov_b32 s4, 0x8764f0ba
	s_mov_b32 s5, 0x3feaeb8c
	v_add_nc_u32_e32 v117, 0x54, v96
	v_fma_f64 v[102:103], v[42:43], v[56:57], v[58:59]
	v_fma_f64 v[42:43], v[42:43], v[54:55], -v[46:47]
	v_mad_u64_u32 v[46:47], null, s2, v96, 0
	v_add3_u32 v61, v61, v67, v66
	v_lshlrev_b64 v[58:59], 4, v[112:113]
	v_lshlrev_b64 v[54:55], 4, v[60:61]
	v_mad_u64_u32 v[56:57], null, s3, v96, v[47:48]
	v_add_co_u32 v60, vcc_lo, s14, v54
	v_add_co_ci_u32_e32 v61, vcc_lo, s15, v55, vcc_lo
	v_mov_b32_e32 v47, v56
	v_add_co_u32 v84, vcc_lo, v60, v58
	v_add_f64 v[54:55], v[44:45], v[102:103]
	v_add_f64 v[56:57], v[40:41], v[42:43]
	v_add_co_ci_u32_e32 v85, vcc_lo, v61, v59, vcc_lo
	v_add_f64 v[58:59], v[62:63], -v[72:73]
	v_add_f64 v[60:61], v[78:79], v[92:93]
	v_lshlrev_b64 v[46:47], 4, v[46:47]
	s_mov_b32 s14, 0x9bcd5057
	s_mov_b32 s15, 0xbfeeb42a
	v_add_co_u32 v46, vcc_lo, v84, v46
	v_add_co_ci_u32_e32 v47, vcc_lo, v85, v47, vcc_lo
	v_add_f64 v[54:55], v[68:69], v[54:55]
	v_add_f64 v[56:57], v[52:53], v[56:57]
	;; [unrolled: 1-line block ×18, first 2 shown]
	v_add_f64 v[86:87], v[86:87], -v[88:89]
	v_add_f64 v[62:63], v[78:79], -v[92:93]
	v_add_f64 v[78:79], v[76:77], v[90:91]
	v_add_f64 v[76:77], v[76:77], -v[90:91]
	v_add_f64 v[88:89], v[70:71], -v[64:65]
	v_add_f64 v[70:71], v[70:71], v[64:65]
	v_add_f64 v[90:91], v[74:75], v[94:95]
	v_add_f64 v[74:75], v[74:75], -v[94:95]
	v_add_f64 v[92:93], v[52:53], -v[50:51]
	v_add_f64 v[94:95], v[52:53], v[50:51]
	v_add_f64 v[50:51], v[102:103], v[98:99]
	;; [unrolled: 1-line block ×5, first 2 shown]
	v_add_f64 v[54:55], v[42:43], -v[100:101]
	v_add_f64 v[97:98], v[102:103], -v[98:99]
	v_add_f64 v[42:43], v[42:43], v[100:101]
	v_mul_f64 v[113:114], v[72:73], s[14:15]
	v_mul_f64 v[115:116], v[86:87], s[22:23]
	;; [unrolled: 1-line block ×18, first 2 shown]
	global_store_dwordx4 v[46:47], v[64:67], off
	v_mul_f64 v[64:65], v[50:51], s[4:5]
	v_add_f64 v[66:67], v[68:69], -v[48:49]
	v_mul_f64 v[68:69], v[52:53], s[6:7]
	v_mul_f64 v[99:100], v[97:98], s[18:19]
	;; [unrolled: 1-line block ×3, first 2 shown]
	v_fma_f64 v[46:47], v[54:55], s[18:19], v[64:65]
	v_mul_f64 v[101:102], v[66:67], s[28:29]
	v_fma_f64 v[48:49], v[92:93], s[28:29], v[68:69]
	v_fma_f64 v[68:69], v[92:93], s[30:31], v[68:69]
	v_add_f64 v[46:47], v[44:45], v[46:47]
	v_fma_f64 v[103:104], v[94:95], s[6:7], -v[101:102]
	v_add_f64 v[46:47], v[48:49], v[46:47]
	v_fma_f64 v[48:49], v[42:43], s[4:5], -v[99:100]
	v_add_f64 v[48:49], v[40:41], v[48:49]
	v_add_f64 v[48:49], v[103:104], v[48:49]
	v_mul_f64 v[103:104], v[90:91], s[10:11]
	v_fma_f64 v[105:106], v[88:89], s[16:17], v[103:104]
	v_add_f64 v[46:47], v[105:106], v[46:47]
	v_mul_f64 v[105:106], v[74:75], s[16:17]
	v_fma_f64 v[107:108], v[70:71], s[10:11], -v[105:106]
	v_add_f64 v[48:49], v[107:108], v[48:49]
	v_mul_f64 v[107:108], v[78:79], s[12:13]
	v_fma_f64 v[109:110], v[62:63], s[20:21], v[107:108]
	v_add_f64 v[46:47], v[109:110], v[46:47]
	v_mul_f64 v[109:110], v[76:77], s[20:21]
	v_fma_f64 v[111:112], v[60:61], s[12:13], -v[109:110]
	v_add_f64 v[111:112], v[111:112], v[48:49]
	v_fma_f64 v[48:49], v[58:59], s[22:23], v[113:114]
	v_add_f64 v[48:49], v[48:49], v[46:47]
	v_fma_f64 v[46:47], v[56:57], s[14:15], -v[115:116]
	v_add_f64 v[46:47], v[46:47], v[111:112]
	v_mad_u64_u32 v[111:112], null, s2, v117, 0
	v_mad_u64_u32 v[117:118], null, s3, v117, v[112:113]
	v_fma_f64 v[113:114], v[58:59], s[26:27], v[113:114]
	v_mov_b32_e32 v112, v117
	v_lshlrev_b64 v[111:112], 4, v[111:112]
	v_add_co_u32 v111, vcc_lo, v84, v111
	v_add_co_ci_u32_e32 v112, vcc_lo, v85, v112, vcc_lo
	global_store_dwordx4 v[111:112], v[46:49], off
	v_mul_f64 v[46:47], v[50:51], s[14:15]
	v_mul_f64 v[48:49], v[50:51], s[12:13]
	;; [unrolled: 1-line block ×4, first 2 shown]
	v_fma_f64 v[117:118], v[54:55], s[22:23], v[46:47]
	v_fma_f64 v[46:47], v[54:55], s[26:27], v[46:47]
	;; [unrolled: 1-line block ×9, first 2 shown]
	v_add_f64 v[117:118], v[44:45], v[117:118]
	v_add_f64 v[119:120], v[44:45], v[119:120]
	v_add_f64 v[125:126], v[44:45], v[48:49]
	v_add_f64 v[121:122], v[44:45], v[121:122]
	v_add_f64 v[111:112], v[44:45], v[111:112]
	v_add_f64 v[64:65], v[44:45], v[123:124]
	v_add_f64 v[123:124], v[44:45], v[46:47]
	v_add_f64 v[130:131], v[44:45], v[50:51]
	v_add_f64 v[132:133], v[44:45], v[54:55]
	v_mul_f64 v[44:45], v[97:98], s[22:23]
	v_mul_f64 v[46:47], v[97:98], s[20:21]
	;; [unrolled: 1-line block ×4, first 2 shown]
	v_add_f64 v[68:69], v[68:69], v[132:133]
	v_fma_f64 v[54:55], v[42:43], s[14:15], -v[44:45]
	v_fma_f64 v[44:45], v[42:43], s[14:15], v[44:45]
	v_fma_f64 v[97:98], v[42:43], s[12:13], -v[46:47]
	v_fma_f64 v[46:47], v[42:43], s[12:13], v[46:47]
	;; [unrolled: 2-line block ×4, first 2 shown]
	v_fma_f64 v[42:43], v[42:43], s[4:5], v[99:100]
	v_add_f64 v[54:55], v[40:41], v[54:55]
	v_add_f64 v[97:98], v[40:41], v[97:98]
	;; [unrolled: 1-line block ×9, first 2 shown]
	v_fma_f64 v[40:41], v[92:93], s[20:21], v[146:147]
	v_fma_f64 v[146:147], v[92:93], s[36:37], v[146:147]
	v_add_f64 v[40:41], v[40:41], v[64:65]
	v_mul_f64 v[64:65], v[66:67], s[20:21]
	v_fma_f64 v[42:43], v[94:95], s[12:13], -v[64:65]
	v_fma_f64 v[64:65], v[94:95], s[12:13], v[64:65]
	v_add_f64 v[42:43], v[42:43], v[99:100]
	v_mul_f64 v[99:100], v[90:91], s[14:15]
	v_add_f64 v[64:65], v[64:65], v[142:143]
	v_fma_f64 v[44:45], v[88:89], s[26:27], v[99:100]
	v_fma_f64 v[99:100], v[88:89], s[22:23], v[99:100]
	v_add_f64 v[40:41], v[44:45], v[40:41]
	v_fma_f64 v[44:45], v[70:71], s[14:15], -v[148:149]
	v_add_f64 v[42:43], v[44:45], v[42:43]
	v_fma_f64 v[44:45], v[62:63], s[24:25], v[150:151]
	v_add_f64 v[40:41], v[44:45], v[40:41]
	v_fma_f64 v[44:45], v[60:61], s[10:11], -v[152:153]
	v_add_f64 v[44:45], v[44:45], v[42:43]
	;; [unrolled: 4-line block ×3, first 2 shown]
	v_fma_f64 v[44:45], v[92:93], s[26:27], v[158:159]
	v_fma_f64 v[158:159], v[92:93], s[22:23], v[158:159]
	v_add_f64 v[44:45], v[44:45], v[121:122]
	v_mul_f64 v[121:122], v[66:67], s[26:27]
	v_add_f64 v[111:112], v[158:159], v[111:112]
	v_fma_f64 v[46:47], v[94:95], s[14:15], -v[121:122]
	v_add_f64 v[46:47], v[46:47], v[134:135]
	v_mul_f64 v[134:135], v[90:91], s[6:7]
	v_fma_f64 v[48:49], v[88:89], s[30:31], v[134:135]
	v_add_f64 v[44:45], v[48:49], v[44:45]
	v_fma_f64 v[48:49], v[70:71], s[6:7], -v[160:161]
	v_add_f64 v[46:47], v[48:49], v[46:47]
	v_fma_f64 v[48:49], v[62:63], s[18:19], v[162:163]
	v_add_f64 v[44:45], v[48:49], v[44:45]
	v_fma_f64 v[48:49], v[60:61], s[4:5], -v[164:165]
	v_add_f64 v[48:49], v[48:49], v[46:47]
	;; [unrolled: 4-line block ×3, first 2 shown]
	v_fma_f64 v[48:49], v[92:93], s[24:25], v[170:171]
	v_add_f64 v[48:49], v[48:49], v[119:120]
	v_mul_f64 v[119:120], v[66:67], s[24:25]
	v_mul_f64 v[66:67], v[66:67], s[34:35]
	v_fma_f64 v[50:51], v[94:95], s[10:11], -v[119:120]
	v_add_f64 v[50:51], v[50:51], v[97:98]
	v_mul_f64 v[97:98], v[90:91], s[4:5]
	v_mul_f64 v[90:91], v[90:91], s[12:13]
	v_fma_f64 v[172:173], v[88:89], s[18:19], v[97:98]
	v_fma_f64 v[97:98], v[88:89], s[34:35], v[97:98]
	v_add_f64 v[48:49], v[172:173], v[48:49]
	v_mul_f64 v[172:173], v[74:75], s[18:19]
	v_mul_f64 v[74:75], v[74:75], s[20:21]
	v_fma_f64 v[174:175], v[70:71], s[4:5], -v[172:173]
	v_add_f64 v[50:51], v[174:175], v[50:51]
	v_mul_f64 v[174:175], v[78:79], s[14:15]
	v_mul_f64 v[78:79], v[78:79], s[6:7]
	v_fma_f64 v[176:177], v[62:63], s[22:23], v[174:175]
	v_add_f64 v[48:49], v[176:177], v[48:49]
	v_mul_f64 v[176:177], v[76:77], s[22:23]
	v_mul_f64 v[76:77], v[76:77], s[30:31]
	v_fma_f64 v[178:179], v[60:61], s[14:15], -v[176:177]
	v_add_f64 v[178:179], v[178:179], v[50:51]
	v_fma_f64 v[50:51], v[58:59], s[30:31], v[180:181]
	v_add_f64 v[50:51], v[50:51], v[48:49]
	v_fma_f64 v[48:49], v[56:57], s[6:7], -v[182:183]
	v_add_f64 v[48:49], v[48:49], v[178:179]
	v_mul_f64 v[178:179], v[52:53], s[4:5]
	v_fma_f64 v[52:53], v[92:93], s[34:35], v[178:179]
	v_add_f64 v[52:53], v[52:53], v[117:118]
	v_fma_f64 v[117:118], v[94:95], s[4:5], -v[66:67]
	v_fma_f64 v[66:67], v[94:95], s[4:5], v[66:67]
	v_add_f64 v[54:55], v[117:118], v[54:55]
	v_fma_f64 v[117:118], v[88:89], s[20:21], v[90:91]
	v_fma_f64 v[90:91], v[88:89], s[36:37], v[90:91]
	v_add_f64 v[66:67], v[66:67], v[136:137]
	v_fma_f64 v[136:137], v[62:63], s[16:17], v[150:151]
	v_add_f64 v[52:53], v[117:118], v[52:53]
	v_fma_f64 v[117:118], v[70:71], s[12:13], -v[74:75]
	v_fma_f64 v[74:75], v[70:71], s[12:13], v[74:75]
	v_add_f64 v[54:55], v[117:118], v[54:55]
	v_fma_f64 v[117:118], v[62:63], s[30:31], v[78:79]
	v_fma_f64 v[78:79], v[62:63], s[28:29], v[78:79]
	v_add_f64 v[66:67], v[74:75], v[66:67]
	v_add_f64 v[52:53], v[117:118], v[52:53]
	v_fma_f64 v[117:118], v[60:61], s[6:7], -v[76:77]
	v_fma_f64 v[76:77], v[60:61], s[6:7], v[76:77]
	v_add_f64 v[117:118], v[117:118], v[54:55]
	v_fma_f64 v[54:55], v[58:59], s[16:17], v[72:73]
	v_fma_f64 v[72:73], v[58:59], s[24:25], v[72:73]
	v_add_f64 v[66:67], v[76:77], v[66:67]
	v_add_f64 v[54:55], v[54:55], v[52:53]
	v_fma_f64 v[52:53], v[56:57], s[10:11], -v[86:87]
	v_add_f64 v[52:53], v[52:53], v[117:118]
	v_fma_f64 v[117:118], v[88:89], s[28:29], v[134:135]
	v_fma_f64 v[88:89], v[88:89], s[24:25], v[103:104]
	;; [unrolled: 1-line block ×7, first 2 shown]
	v_add_f64 v[121:122], v[146:147], v[130:131]
	v_fma_f64 v[130:131], v[70:71], s[14:15], v[148:149]
	v_add_f64 v[101:102], v[103:104], v[123:124]
	v_add_f64 v[103:104], v[134:135], v[125:126]
	;; [unrolled: 1-line block ×3, first 2 shown]
	v_fma_f64 v[123:124], v[70:71], s[4:5], v[172:173]
	v_add_f64 v[119:120], v[119:120], v[140:141]
	v_fma_f64 v[125:126], v[70:71], s[6:7], v[160:161]
	v_fma_f64 v[70:71], v[70:71], s[10:11], v[105:106]
	;; [unrolled: 1-line block ×3, first 2 shown]
	v_add_f64 v[94:95], v[94:95], v[144:145]
	v_add_f64 v[64:65], v[130:131], v[64:65]
	;; [unrolled: 1-line block ×3, first 2 shown]
	v_fma_f64 v[105:106], v[62:63], s[26:27], v[174:175]
	v_fma_f64 v[62:63], v[62:63], s[36:37], v[107:108]
	;; [unrolled: 1-line block ×3, first 2 shown]
	v_add_f64 v[90:91], v[90:91], v[101:102]
	v_add_f64 v[74:75], v[97:98], v[103:104]
	v_add_f64 v[97:98], v[117:118], v[111:112]
	v_add_f64 v[92:93], v[123:124], v[92:93]
	v_fma_f64 v[103:104], v[60:61], s[14:15], v[176:177]
	v_fma_f64 v[111:112], v[60:61], s[10:11], v[152:153]
	v_add_f64 v[101:102], v[125:126], v[119:120]
	v_fma_f64 v[60:61], v[60:61], s[12:13], v[109:110]
	v_fma_f64 v[109:110], v[58:59], s[28:29], v[180:181]
	;; [unrolled: 1-line block ×4, first 2 shown]
	v_add_f64 v[58:59], v[88:89], v[68:69]
	v_add_f64 v[68:69], v[70:71], v[94:95]
	v_fma_f64 v[94:95], v[56:57], s[12:13], v[168:169]
	v_add_f64 v[70:71], v[78:79], v[90:91]
	v_add_f64 v[90:91], v[136:137], v[99:100]
	v_add_f64 v[78:79], v[134:135], v[97:98]
	v_fma_f64 v[97:98], v[56:57], s[4:5], v[156:157]
	v_add_f64 v[76:77], v[103:104], v[92:93]
	v_add_f64 v[92:93], v[111:112], v[64:65]
	v_fma_f64 v[64:65], v[56:57], s[10:11], v[86:87]
	v_fma_f64 v[86:87], v[56:57], s[6:7], v[182:183]
	v_add_f64 v[88:89], v[107:108], v[101:102]
	v_add_f64 v[74:75], v[105:106], v[74:75]
	v_add_nc_u32_e32 v105, 0xa8, v96
	v_add_f64 v[101:102], v[62:63], v[58:59]
	v_add_f64 v[103:104], v[60:61], v[68:69]
	v_fma_f64 v[99:100], v[56:57], s[14:15], v[115:116]
	v_add_nc_u32_e32 v108, 0x1a4, v96
	v_add_nc_u32_e32 v107, 0x150, v96
	;; [unrolled: 1-line block ×3, first 2 shown]
	v_add_f64 v[58:59], v[72:73], v[70:71]
	v_add_f64 v[71:72], v[119:120], v[90:91]
	v_mad_u64_u32 v[90:91], null, s2, v108, 0
	v_add_f64 v[69:70], v[97:98], v[92:93]
	v_add_f64 v[56:57], v[64:65], v[66:67]
	;; [unrolled: 1-line block ×3, first 2 shown]
	v_mad_u64_u32 v[86:87], null, s2, v105, 0
	v_add_f64 v[64:65], v[94:95], v[88:89]
	v_mad_u64_u32 v[88:89], null, s2, v107, 0
	v_add_f64 v[62:63], v[109:110], v[74:75]
	v_add_nc_u32_e32 v109, 0x1f8, v96
	v_add_f64 v[66:67], v[117:118], v[78:79]
	v_mov_b32_e32 v68, v87
	v_mad_u64_u32 v[77:78], null, s2, v106, 0
	v_add_f64 v[73:74], v[99:100], v[103:104]
	v_mov_b32_e32 v79, v89
	v_add_f64 v[75:76], v[113:114], v[101:102]
	v_add_nc_u32_e32 v104, 0x2a0, v96
	v_mad_u64_u32 v[92:93], null, s3, v105, v[68:69]
	v_mov_b32_e32 v68, v91
	v_add_nc_u32_e32 v91, 0x24c, v96
	v_mad_u64_u32 v[93:94], null, s3, v106, v[78:79]
	v_mad_u64_u32 v[94:95], null, s3, v107, v[79:80]
	v_mad_u64_u32 v[97:98], null, s3, v108, v[68:69]
	v_mad_u64_u32 v[98:99], null, s2, v109, 0
	v_mad_u64_u32 v[100:101], null, s2, v91, 0
	v_mov_b32_e32 v87, v92
	v_mov_b32_e32 v78, v93
	;; [unrolled: 1-line block ×4, first 2 shown]
	v_lshlrev_b64 v[86:87], 4, v[86:87]
	v_mov_b32_e32 v79, v101
	v_lshlrev_b64 v[77:78], 4, v[77:78]
	v_lshlrev_b64 v[88:89], 4, v[88:89]
	v_mad_u64_u32 v[92:93], null, s3, v109, v[68:69]
	v_mad_u64_u32 v[93:94], null, s3, v91, v[79:80]
	;; [unrolled: 1-line block ×3, first 2 shown]
	v_add_nc_u32_e32 v79, 0x2f4, v96
	v_mov_b32_e32 v91, v97
	v_mov_b32_e32 v99, v92
	v_add_co_u32 v86, s1, v84, v86
	v_mad_u64_u32 v[102:103], null, s2, v79, 0
	v_mov_b32_e32 v68, v95
	v_mov_b32_e32 v101, v93
	v_add_co_ci_u32_e64 v87, s1, v85, v87, s1
	v_lshlrev_b64 v[90:91], 4, v[90:91]
	v_mad_u64_u32 v[92:93], null, s3, v104, v[68:69]
	v_mov_b32_e32 v68, v103
	v_add_co_u32 v77, s1, v84, v77
	v_add_co_ci_u32_e64 v78, s1, v85, v78, s1
	v_mad_u64_u32 v[103:104], null, s3, v79, v[68:69]
	v_add_nc_u32_e32 v79, 0x348, v96
	v_mov_b32_e32 v95, v92
	v_add_co_u32 v88, s1, v84, v88
	v_add_co_ci_u32_e64 v89, s1, v85, v89, s1
	v_mad_u64_u32 v[92:93], null, s2, v79, 0
	v_add_co_u32 v90, s1, v84, v90
	v_add_co_ci_u32_e64 v91, s1, v85, v91, s1
	v_lshlrev_b64 v[94:95], 4, v[94:95]
	v_mov_b32_e32 v68, v93
	v_mad_u64_u32 v[96:97], null, s3, v79, v[68:69]
	v_add_nc_u32_e32 v68, 44, v128
	v_cmp_gt_u32_e32 vcc_lo, 0x54, v68
	v_mov_b32_e32 v93, v96
	v_lshlrev_b64 v[96:97], 4, v[98:99]
	v_lshlrev_b64 v[98:99], 4, v[100:101]
	;; [unrolled: 1-line block ×4, first 2 shown]
	v_add_co_u32 v96, s1, v84, v96
	v_add_co_ci_u32_e64 v97, s1, v85, v97, s1
	v_add_co_u32 v98, s1, v84, v98
	v_add_co_ci_u32_e64 v99, s1, v85, v99, s1
	;; [unrolled: 2-line block ×5, first 2 shown]
	global_store_dwordx4 v[86:87], v[40:43], off
	global_store_dwordx4 v[77:78], v[44:47], off
	;; [unrolled: 1-line block ×9, first 2 shown]
	s_and_b32 exec_lo, exec_lo, vcc_lo
	s_cbranch_execz .LBB0_34
; %bb.33:
	v_subrev_nc_u32_e32 v40, 40, v128
	v_mov_b32_e32 v41, 0
	v_cndmask_b32_e64 v40, v40, v129, s0
	v_mul_i32_i24_e32 v40, 10, v40
	v_lshlrev_b64 v[40:41], 4, v[40:41]
	v_add_co_u32 v48, vcc_lo, s8, v40
	v_add_co_ci_u32_e32 v49, vcc_lo, s9, v41, vcc_lo
	s_clause 0x1
	global_load_dwordx4 v[40:43], v[48:49], off offset:1312
	global_load_dwordx4 v[44:47], v[48:49], off offset:1328
	s_waitcnt vmcnt(1)
	v_mul_f64 v[50:51], v[36:37], v[42:43]
	v_fma_f64 v[54:55], v[20:21], v[40:41], -v[50:51]
	v_mul_f64 v[20:21], v[20:21], v[42:43]
	v_fma_f64 v[20:21], v[36:37], v[40:41], v[20:21]
	s_waitcnt vmcnt(0)
	v_mul_f64 v[36:37], v[38:39], v[46:47]
	v_fma_f64 v[40:41], v[22:23], v[44:45], -v[36:37]
	v_mul_f64 v[22:23], v[22:23], v[46:47]
	v_fma_f64 v[22:23], v[38:39], v[44:45], v[22:23]
	s_clause 0x1
	global_load_dwordx4 v[42:45], v[48:49], off offset:1344
	global_load_dwordx4 v[50:53], v[48:49], off offset:1360
	s_waitcnt vmcnt(1)
	v_mul_f64 v[36:37], v[24:25], v[44:45]
	v_fma_f64 v[36:37], v[8:9], v[42:43], -v[36:37]
	v_mul_f64 v[8:9], v[8:9], v[44:45]
	v_fma_f64 v[24:25], v[24:25], v[42:43], v[8:9]
	s_waitcnt vmcnt(0)
	v_mul_f64 v[8:9], v[10:11], v[52:53]
	v_fma_f64 v[8:9], v[26:27], v[50:51], v[8:9]
	v_mul_f64 v[26:27], v[26:27], v[52:53]
	v_fma_f64 v[10:11], v[10:11], v[50:51], -v[26:27]
	s_clause 0x1
	global_load_dwordx4 v[42:45], v[48:49], off offset:1376
	global_load_dwordx4 v[50:53], v[48:49], off offset:1392
	s_waitcnt vmcnt(1)
	v_mul_f64 v[26:27], v[32:33], v[44:45]
	v_fma_f64 v[26:27], v[16:17], v[42:43], -v[26:27]
	v_mul_f64 v[16:17], v[16:17], v[44:45]
	v_fma_f64 v[16:17], v[32:33], v[42:43], v[16:17]
	s_waitcnt vmcnt(0)
	v_mul_f64 v[32:33], v[34:35], v[52:53]
	v_fma_f64 v[38:39], v[18:19], v[50:51], -v[32:33]
	v_mul_f64 v[18:19], v[18:19], v[52:53]
	v_fma_f64 v[18:19], v[34:35], v[50:51], v[18:19]
	global_load_dwordx4 v[32:35], v[48:49], off offset:1424
	v_add_f64 v[58:59], v[16:17], v[18:19]
	s_waitcnt vmcnt(0)
	v_mul_f64 v[42:43], v[30:31], v[34:35]
	v_mul_f64 v[34:35], v[14:15], v[34:35]
	v_fma_f64 v[42:43], v[14:15], v[32:33], -v[42:43]
	v_fma_f64 v[34:35], v[30:31], v[32:33], v[34:35]
	global_load_dwordx4 v[30:33], v[48:49], off offset:1408
	v_add_f64 v[56:57], v[36:37], v[42:43]
	s_waitcnt vmcnt(0)
	v_mul_f64 v[14:15], v[12:13], v[32:33]
	v_fma_f64 v[44:45], v[28:29], v[30:31], v[14:15]
	v_mul_f64 v[14:15], v[28:29], v[32:33]
	v_fma_f64 v[32:33], v[12:13], v[30:31], -v[14:15]
	s_clause 0x1
	global_load_dwordx4 v[12:15], v[48:49], off offset:1456
	global_load_dwordx4 v[28:31], v[48:49], off offset:1440
	s_waitcnt vmcnt(1)
	v_mul_f64 v[46:47], v[2:3], v[14:15]
	s_waitcnt vmcnt(0)
	v_mul_f64 v[48:49], v[0:1], v[30:31]
	v_fma_f64 v[46:47], v[6:7], v[12:13], v[46:47]
	v_fma_f64 v[48:49], v[4:5], v[28:29], v[48:49]
	v_mul_f64 v[4:5], v[4:5], v[30:31]
	v_mul_f64 v[6:7], v[6:7], v[14:15]
	v_add_f64 v[14:15], v[82:83], v[20:21]
	v_fma_f64 v[4:5], v[0:1], v[28:29], -v[4:5]
	v_add_f64 v[0:1], v[80:81], v[54:55]
	v_add_f64 v[14:15], v[14:15], v[22:23]
	v_fma_f64 v[6:7], v[2:3], v[12:13], -v[6:7]
	v_mad_u64_u32 v[2:3], null, s2, v68, 0
	v_add_f64 v[28:29], v[20:21], -v[46:47]
	v_mad_u64_u32 v[12:13], null, s3, v68, v[3:4]
	v_add_f64 v[0:1], v[0:1], v[40:41]
	v_add_f64 v[14:15], v[14:15], v[24:25]
	v_add_f64 v[50:51], v[54:55], -v[6:7]
	v_add_f64 v[52:53], v[54:55], v[6:7]
	v_add_f64 v[54:55], v[22:23], -v[48:49]
	v_mul_f64 v[86:87], v[28:29], s[16:17]
	v_mov_b32_e32 v3, v12
	v_mul_f64 v[106:107], v[28:29], s[20:21]
	v_lshlrev_b64 v[2:3], 4, v[2:3]
	v_add_co_u32 v30, vcc_lo, v84, v2
	v_add_co_ci_u32_e32 v31, vcc_lo, v85, v3, vcc_lo
	v_add_f64 v[0:1], v[0:1], v[36:37]
	v_add_f64 v[14:15], v[14:15], v[8:9]
	v_mul_f64 v[90:91], v[50:51], s[16:17]
	v_mul_f64 v[110:111], v[50:51], s[20:21]
	;; [unrolled: 1-line block ×4, first 2 shown]
	v_add_f64 v[0:1], v[0:1], v[10:11]
	v_add_f64 v[14:15], v[14:15], v[16:17]
	;; [unrolled: 1-line block ×11, first 2 shown]
	v_add_f64 v[22:23], v[24:25], -v[34:35]
	v_add_f64 v[0:1], v[0:1], v[4:5]
	v_add_f64 v[2:3], v[13:14], v[46:47]
	v_mul_f64 v[12:13], v[54:55], s[28:29]
	v_add_f64 v[46:47], v[20:21], v[46:47]
	v_add_f64 v[20:21], v[36:37], -v[42:43]
	v_add_f64 v[36:37], v[24:25], v[34:35]
	v_add_f64 v[24:25], v[10:11], v[32:33]
	v_add_f64 v[32:33], v[10:11], -v[32:33]
	v_add_f64 v[34:35], v[8:9], -v[44:45]
	v_add_f64 v[42:43], v[8:9], v[44:45]
	v_add_f64 v[44:45], v[26:27], v[38:39]
	v_add_f64 v[26:27], v[26:27], -v[38:39]
	v_add_f64 v[38:39], v[16:17], -v[18:19]
	v_mul_f64 v[68:69], v[22:23], s[26:27]
	v_mul_f64 v[94:95], v[22:23], s[30:31]
	v_add_f64 v[0:1], v[0:1], v[6:7]
	v_mul_f64 v[6:7], v[28:29], s[18:19]
	v_mul_f64 v[70:71], v[20:21], s[26:27]
	;; [unrolled: 1-line block ×11, first 2 shown]
	global_store_dwordx4 v[30:31], v[0:3], off
	v_add_f64 v[30:31], v[40:41], v[4:5]
	v_fma_f64 v[0:1], v[52:53], s[4:5], -v[6:7]
	v_add_f64 v[40:41], v[40:41], -v[4:5]
	v_mul_f64 v[4:5], v[50:51], s[18:19]
	v_fma_f64 v[6:7], v[52:53], s[4:5], v[6:7]
	v_fma_f64 v[2:3], v[30:31], s[6:7], -v[12:13]
	v_add_f64 v[0:1], v[80:81], v[0:1]
	v_mul_f64 v[10:11], v[40:41], s[28:29]
	v_fma_f64 v[8:9], v[46:47], s[4:5], v[4:5]
	v_fma_f64 v[12:13], v[30:31], s[6:7], v[12:13]
	v_add_f64 v[6:7], v[80:81], v[6:7]
	v_fma_f64 v[4:5], v[46:47], s[4:5], -v[4:5]
	v_mul_f64 v[66:67], v[40:41], s[20:21]
	v_mul_f64 v[92:93], v[40:41], s[26:27]
	v_mul_f64 v[112:113], v[40:41], s[24:25]
	v_mul_f64 v[40:41], v[40:41], s[34:35]
	v_add_f64 v[0:1], v[2:3], v[0:1]
	v_add_f64 v[2:3], v[82:83], v[8:9]
	v_fma_f64 v[8:9], v[48:49], s[6:7], v[10:11]
	v_add_f64 v[6:7], v[12:13], v[6:7]
	v_fma_f64 v[10:11], v[48:49], s[6:7], -v[10:11]
	v_add_f64 v[4:5], v[82:83], v[4:5]
	v_fma_f64 v[12:13], v[48:49], s[12:13], v[66:67]
	v_fma_f64 v[114:115], v[48:49], s[10:11], v[112:113]
	;; [unrolled: 1-line block ×3, first 2 shown]
	v_fma_f64 v[40:41], v[48:49], s[4:5], -v[40:41]
	v_add_f64 v[2:3], v[8:9], v[2:3]
	v_mul_f64 v[8:9], v[22:23], s[16:17]
	v_add_f64 v[4:5], v[10:11], v[4:5]
	v_fma_f64 v[14:15], v[56:57], s[10:11], -v[8:9]
	v_fma_f64 v[8:9], v[56:57], s[10:11], v[8:9]
	v_add_f64 v[0:1], v[14:15], v[0:1]
	v_mul_f64 v[14:15], v[20:21], s[16:17]
	v_add_f64 v[6:7], v[8:9], v[6:7]
	v_fma_f64 v[16:17], v[36:37], s[10:11], v[14:15]
	v_fma_f64 v[8:9], v[36:37], s[10:11], -v[14:15]
	v_fma_f64 v[14:15], v[30:31], s[14:15], -v[88:89]
	v_add_f64 v[2:3], v[16:17], v[2:3]
	v_mul_f64 v[16:17], v[34:35], s[20:21]
	v_add_f64 v[4:5], v[8:9], v[4:5]
	v_fma_f64 v[18:19], v[24:25], s[12:13], -v[16:17]
	v_fma_f64 v[8:9], v[24:25], s[12:13], v[16:17]
	v_fma_f64 v[16:17], v[48:49], s[14:15], v[92:93]
	v_add_f64 v[0:1], v[18:19], v[0:1]
	v_mul_f64 v[18:19], v[32:33], s[20:21]
	v_add_f64 v[6:7], v[8:9], v[6:7]
	v_fma_f64 v[60:61], v[42:43], s[12:13], v[18:19]
	v_fma_f64 v[8:9], v[42:43], s[12:13], -v[18:19]
	v_fma_f64 v[18:19], v[30:31], s[10:11], -v[108:109]
	v_add_f64 v[2:3], v[60:61], v[2:3]
	v_mul_f64 v[60:61], v[38:39], s[22:23]
	v_add_f64 v[8:9], v[8:9], v[4:5]
	v_fma_f64 v[62:63], v[44:45], s[14:15], -v[60:61]
	v_fma_f64 v[4:5], v[44:45], s[14:15], v[60:61]
	v_mul_f64 v[60:61], v[28:29], s[28:29]
	v_mul_f64 v[28:29], v[28:29], s[22:23]
	v_add_f64 v[0:1], v[62:63], v[0:1]
	v_mul_f64 v[62:63], v[26:27], s[22:23]
	v_add_f64 v[4:5], v[4:5], v[6:7]
	v_fma_f64 v[10:11], v[58:59], s[14:15], -v[62:63]
	v_fma_f64 v[64:65], v[58:59], s[14:15], v[62:63]
	v_mul_f64 v[62:63], v[54:55], s[20:21]
	v_mul_f64 v[54:55], v[54:55], s[34:35]
	v_add_f64 v[6:7], v[10:11], v[8:9]
	v_fma_f64 v[8:9], v[52:53], s[6:7], -v[60:61]
	v_add_f64 v[2:3], v[64:65], v[2:3]
	v_fma_f64 v[10:11], v[30:31], s[12:13], -v[62:63]
	v_mul_f64 v[64:65], v[50:51], s[28:29]
	v_fma_f64 v[129:130], v[30:31], s[4:5], -v[54:55]
	v_mul_f64 v[50:51], v[50:51], s[22:23]
	v_fma_f64 v[60:61], v[52:53], s[6:7], v[60:61]
	v_fma_f64 v[62:63], v[30:31], s[12:13], v[62:63]
	v_add_f64 v[8:9], v[80:81], v[8:9]
	v_add_f64 v[60:61], v[80:81], v[60:61]
	;; [unrolled: 1-line block ×3, first 2 shown]
	v_fma_f64 v[10:11], v[46:47], s[6:7], v[64:65]
	v_add_f64 v[10:11], v[82:83], v[10:11]
	v_add_f64 v[10:11], v[12:13], v[10:11]
	v_fma_f64 v[12:13], v[56:57], s[14:15], -v[68:69]
	v_add_f64 v[8:9], v[12:13], v[8:9]
	v_fma_f64 v[12:13], v[36:37], s[14:15], v[70:71]
	v_add_f64 v[10:11], v[12:13], v[10:11]
	v_fma_f64 v[12:13], v[24:25], s[10:11], -v[72:73]
	v_add_f64 v[8:9], v[12:13], v[8:9]
	v_fma_f64 v[12:13], v[42:43], s[10:11], v[74:75]
	;; [unrolled: 4-line block ×3, first 2 shown]
	v_add_f64 v[10:11], v[12:13], v[10:11]
	v_fma_f64 v[12:13], v[52:53], s[10:11], -v[86:87]
	v_fma_f64 v[86:87], v[52:53], s[10:11], v[86:87]
	v_add_f64 v[12:13], v[80:81], v[12:13]
	v_add_f64 v[86:87], v[80:81], v[86:87]
	;; [unrolled: 1-line block ×3, first 2 shown]
	v_fma_f64 v[14:15], v[46:47], s[10:11], v[90:91]
	v_add_f64 v[14:15], v[82:83], v[14:15]
	v_add_f64 v[14:15], v[16:17], v[14:15]
	v_fma_f64 v[16:17], v[56:57], s[6:7], -v[94:95]
	v_add_f64 v[12:13], v[16:17], v[12:13]
	v_fma_f64 v[16:17], v[36:37], s[6:7], v[96:97]
	v_add_f64 v[14:15], v[16:17], v[14:15]
	v_fma_f64 v[16:17], v[24:25], s[4:5], -v[98:99]
	v_add_f64 v[12:13], v[16:17], v[12:13]
	v_fma_f64 v[16:17], v[42:43], s[4:5], v[100:101]
	;; [unrolled: 4-line block ×3, first 2 shown]
	v_add_f64 v[14:15], v[16:17], v[14:15]
	v_fma_f64 v[16:17], v[52:53], s[12:13], -v[106:107]
	v_fma_f64 v[106:107], v[52:53], s[12:13], v[106:107]
	v_add_f64 v[16:17], v[80:81], v[16:17]
	v_add_f64 v[106:107], v[80:81], v[106:107]
	;; [unrolled: 1-line block ×3, first 2 shown]
	v_fma_f64 v[18:19], v[46:47], s[12:13], v[110:111]
	v_add_f64 v[18:19], v[82:83], v[18:19]
	v_add_f64 v[18:19], v[114:115], v[18:19]
	v_mul_f64 v[114:115], v[22:23], s[18:19]
	v_fma_f64 v[116:117], v[56:57], s[4:5], -v[114:115]
	v_add_f64 v[16:17], v[116:117], v[16:17]
	v_mul_f64 v[116:117], v[20:21], s[18:19]
	v_fma_f64 v[118:119], v[36:37], s[4:5], v[116:117]
	v_add_f64 v[18:19], v[118:119], v[18:19]
	v_mul_f64 v[118:119], v[34:35], s[22:23]
	v_mul_f64 v[34:35], v[34:35], s[30:31]
	v_fma_f64 v[120:121], v[24:25], s[14:15], -v[118:119]
	v_add_f64 v[16:17], v[120:121], v[16:17]
	v_mul_f64 v[120:121], v[32:33], s[22:23]
	v_mul_f64 v[32:33], v[32:33], s[30:31]
	v_fma_f64 v[122:123], v[42:43], s[14:15], v[120:121]
	v_add_f64 v[18:19], v[122:123], v[18:19]
	v_mul_f64 v[122:123], v[38:39], s[30:31]
	v_mul_f64 v[38:39], v[38:39], s[16:17]
	v_fma_f64 v[124:125], v[44:45], s[6:7], -v[122:123]
	v_add_f64 v[16:17], v[124:125], v[16:17]
	v_mul_f64 v[124:125], v[26:27], s[30:31]
	v_mul_f64 v[26:27], v[26:27], s[16:17]
	v_fma_f64 v[126:127], v[58:59], s[6:7], v[124:125]
	v_add_f64 v[18:19], v[126:127], v[18:19]
	v_fma_f64 v[126:127], v[52:53], s[14:15], -v[28:29]
	v_fma_f64 v[28:29], v[52:53], s[14:15], v[28:29]
	v_fma_f64 v[52:53], v[46:47], s[10:11], -v[90:91]
	v_fma_f64 v[90:91], v[46:47], s[12:13], -v[110:111]
	v_add_f64 v[126:127], v[80:81], v[126:127]
	v_add_f64 v[28:29], v[80:81], v[28:29]
	;; [unrolled: 1-line block ×5, first 2 shown]
	v_fma_f64 v[129:130], v[46:47], s[14:15], v[50:51]
	v_fma_f64 v[50:51], v[46:47], s[14:15], -v[50:51]
	v_fma_f64 v[46:47], v[46:47], s[6:7], -v[64:65]
	v_fma_f64 v[64:65], v[30:31], s[14:15], v[88:89]
	v_fma_f64 v[88:89], v[30:31], s[10:11], v[108:109]
	;; [unrolled: 1-line block ×3, first 2 shown]
	v_fma_f64 v[54:55], v[48:49], s[12:13], -v[66:67]
	v_fma_f64 v[66:67], v[48:49], s[14:15], -v[92:93]
	v_fma_f64 v[92:93], v[48:49], s[10:11], -v[112:113]
	v_fma_f64 v[48:49], v[56:57], s[14:15], v[68:69]
	v_fma_f64 v[68:69], v[56:57], s[6:7], v[94:95]
	;; [unrolled: 1-line block ×3, first 2 shown]
	v_add_f64 v[129:130], v[82:83], v[129:130]
	v_add_f64 v[50:51], v[82:83], v[50:51]
	;; [unrolled: 1-line block ×3, first 2 shown]
	v_fma_f64 v[82:83], v[36:37], s[6:7], -v[96:97]
	v_add_f64 v[64:65], v[64:65], v[86:87]
	v_add_f64 v[28:29], v[30:31], v[28:29]
	v_fma_f64 v[86:87], v[24:25], s[14:15], v[118:119]
	v_add_f64 v[52:53], v[66:67], v[52:53]
	v_add_f64 v[66:67], v[88:89], v[106:107]
	;; [unrolled: 1-line block ×4, first 2 shown]
	v_mul_f64 v[131:132], v[22:23], s[20:21]
	v_add_f64 v[30:31], v[40:41], v[50:51]
	v_fma_f64 v[50:51], v[36:37], s[4:5], -v[116:117]
	v_add_f64 v[46:47], v[54:55], v[46:47]
	v_add_f64 v[54:55], v[68:69], v[64:65]
	v_fma_f64 v[64:65], v[44:45], s[12:13], v[102:103]
	v_fma_f64 v[22:23], v[56:57], s[12:13], -v[131:132]
	v_fma_f64 v[56:57], v[56:57], s[12:13], v[131:132]
	v_add_f64 v[22:23], v[22:23], v[126:127]
	v_mul_f64 v[126:127], v[20:21], s[20:21]
	v_add_f64 v[28:29], v[56:57], v[28:29]
	v_fma_f64 v[56:57], v[42:43], s[4:5], -v[100:101]
	v_fma_f64 v[20:21], v[36:37], s[12:13], v[126:127]
	v_fma_f64 v[40:41], v[36:37], s[12:13], -v[126:127]
	v_fma_f64 v[36:37], v[36:37], s[14:15], -v[70:71]
	v_fma_f64 v[70:71], v[24:25], s[10:11], v[72:73]
	v_fma_f64 v[72:73], v[24:25], s[4:5], v[98:99]
	v_add_f64 v[20:21], v[20:21], v[129:130]
	v_fma_f64 v[129:130], v[24:25], s[6:7], -v[34:35]
	v_fma_f64 v[24:25], v[24:25], s[6:7], v[34:35]
	v_add_f64 v[34:35], v[62:63], v[60:61]
	v_add_f64 v[60:61], v[94:95], v[66:67]
	;; [unrolled: 1-line block ×5, first 2 shown]
	v_fma_f64 v[52:53], v[42:43], s[14:15], -v[120:121]
	v_add_f64 v[36:37], v[36:37], v[46:47]
	v_fma_f64 v[66:67], v[44:45], s[6:7], v[122:123]
	v_fma_f64 v[62:63], v[44:45], s[4:5], v[76:77]
	v_add_f64 v[22:23], v[129:130], v[22:23]
	v_fma_f64 v[129:130], v[42:43], s[6:7], v[32:33]
	v_fma_f64 v[32:33], v[42:43], s[6:7], -v[32:33]
	v_fma_f64 v[42:43], v[42:43], s[10:11], -v[74:75]
	v_add_f64 v[46:47], v[86:87], v[60:61]
	v_add_f64 v[24:25], v[24:25], v[28:29]
	;; [unrolled: 1-line block ×3, first 2 shown]
	v_fma_f64 v[48:49], v[58:59], s[12:13], -v[104:105]
	v_add_nc_u32_e32 v60, 0x374, v128
	v_add_f64 v[129:130], v[129:130], v[20:21]
	v_fma_f64 v[20:21], v[44:45], s[10:11], -v[38:39]
	v_add_f64 v[28:29], v[32:33], v[30:31]
	v_fma_f64 v[38:39], v[44:45], s[10:11], v[38:39]
	v_add_f64 v[30:31], v[52:53], v[40:41]
	v_add_f64 v[40:41], v[56:57], v[50:51]
	v_fma_f64 v[50:51], v[58:59], s[4:5], -v[78:79]
	v_add_f64 v[42:43], v[42:43], v[36:37]
	v_add_f64 v[44:45], v[72:73], v[54:55]
	v_fma_f64 v[32:33], v[58:59], s[6:7], -v[124:125]
	v_add_nc_u32_e32 v56, 0x80, v128
	v_add_nc_u32_e32 v57, 0xd4, v128
	v_add_f64 v[52:53], v[70:71], v[34:35]
	v_mad_u64_u32 v[54:55], null, s2, v56, 0
	v_add_f64 v[20:21], v[20:21], v[22:23]
	v_fma_f64 v[22:23], v[58:59], s[10:11], v[26:27]
	v_fma_f64 v[26:27], v[58:59], s[10:11], -v[26:27]
	v_add_nc_u32_e32 v58, 0x128, v128
	v_add_nc_u32_e32 v59, 0x17c, v128
	v_add_f64 v[24:25], v[38:39], v[24:25]
	v_add_f64 v[34:35], v[48:49], v[40:41]
	;; [unrolled: 1-line block ×3, first 2 shown]
	v_mad_u64_u32 v[40:41], null, s2, v58, 0
	v_mad_u64_u32 v[42:43], null, s2, v59, 0
	v_add_f64 v[30:31], v[32:33], v[30:31]
	v_add_f64 v[32:33], v[64:65], v[44:45]
	v_mov_b32_e32 v44, v55
	v_add_f64 v[36:37], v[62:63], v[52:53]
	v_add_f64 v[22:23], v[22:23], v[129:130]
	;; [unrolled: 1-line block ×4, first 2 shown]
	v_mad_u64_u32 v[46:47], null, s2, v57, 0
	v_mov_b32_e32 v45, v47
	v_mad_u64_u32 v[47:48], null, s3, v56, v[44:45]
	v_mad_u64_u32 v[48:49], null, s3, v58, v[41:42]
	v_mov_b32_e32 v41, v43
	v_add_nc_u32_e32 v43, 0x1d0, v128
	v_mad_u64_u32 v[44:45], null, s3, v57, v[45:46]
	v_mov_b32_e32 v55, v47
	v_mad_u64_u32 v[49:50], null, s3, v59, v[41:42]
	v_mad_u64_u32 v[50:51], null, s2, v43, 0
	v_add_nc_u32_e32 v56, 0x2cc, v128
	v_mov_b32_e32 v47, v44
	v_add_nc_u32_e32 v58, 0x320, v128
	v_lshlrev_b64 v[54:55], 4, v[54:55]
	v_mov_b32_e32 v41, v51
	v_add_nc_u32_e32 v51, 0x224, v128
	v_add_co_u32 v54, vcc_lo, v84, v54
	v_mad_u64_u32 v[44:45], null, s3, v43, v[41:42]
	v_mad_u64_u32 v[52:53], null, s2, v51, 0
	v_mov_b32_e32 v41, v48
	v_mov_b32_e32 v43, v49
	v_add_co_ci_u32_e32 v55, vcc_lo, v85, v55, vcc_lo
	v_lshlrev_b64 v[40:41], 4, v[40:41]
	v_mov_b32_e32 v45, v53
	v_lshlrev_b64 v[42:43], 4, v[42:43]
	v_mad_u64_u32 v[48:49], null, s3, v51, v[45:46]
	v_add_nc_u32_e32 v49, 0x278, v128
	v_mov_b32_e32 v51, v44
	v_mad_u64_u32 v[44:45], null, s2, v49, 0
	v_mov_b32_e32 v53, v48
	v_lshlrev_b64 v[52:53], 4, v[52:53]
	v_mad_u64_u32 v[48:49], null, s3, v49, v[45:46]
	v_lshlrev_b64 v[46:47], 4, v[46:47]
	v_mov_b32_e32 v45, v48
	v_mad_u64_u32 v[48:49], null, s2, v56, 0
	v_add_co_u32 v46, vcc_lo, v84, v46
	v_add_co_ci_u32_e32 v47, vcc_lo, v85, v47, vcc_lo
	v_add_co_u32 v40, vcc_lo, v84, v40
	v_mad_u64_u32 v[56:57], null, s3, v56, v[49:50]
	v_lshlrev_b64 v[50:51], 4, v[50:51]
	v_add_co_ci_u32_e32 v41, vcc_lo, v85, v41, vcc_lo
	v_add_co_u32 v42, vcc_lo, v84, v42
	v_add_co_ci_u32_e32 v43, vcc_lo, v85, v43, vcc_lo
	v_mov_b32_e32 v49, v56
	v_mad_u64_u32 v[56:57], null, s2, v58, 0
	v_add_co_u32 v50, vcc_lo, v84, v50
	v_lshlrev_b64 v[44:45], 4, v[44:45]
	v_add_co_ci_u32_e32 v51, vcc_lo, v85, v51, vcc_lo
	v_add_co_u32 v52, vcc_lo, v84, v52
	v_mad_u64_u32 v[57:58], null, s3, v58, v[57:58]
	v_mad_u64_u32 v[58:59], null, s2, v60, 0
	v_lshlrev_b64 v[48:49], 4, v[48:49]
	v_add_co_ci_u32_e32 v53, vcc_lo, v85, v53, vcc_lo
	v_add_co_u32 v44, vcc_lo, v84, v44
	v_lshlrev_b64 v[56:57], 4, v[56:57]
	v_mad_u64_u32 v[59:60], null, s3, v60, v[59:60]
	v_add_co_ci_u32_e32 v45, vcc_lo, v85, v45, vcc_lo
	v_add_co_u32 v48, vcc_lo, v84, v48
	v_add_co_ci_u32_e32 v49, vcc_lo, v85, v49, vcc_lo
	v_lshlrev_b64 v[58:59], 4, v[58:59]
	v_add_co_u32 v56, vcc_lo, v84, v56
	v_add_co_ci_u32_e32 v57, vcc_lo, v85, v57, vcc_lo
	v_add_co_u32 v58, vcc_lo, v84, v58
	v_add_co_ci_u32_e32 v59, vcc_lo, v85, v59, vcc_lo
	global_store_dwordx4 v[54:55], v[0:3], off
	global_store_dwordx4 v[46:47], v[8:11], off
	;; [unrolled: 1-line block ×10, first 2 shown]
.LBB0_34:
	s_endpgm
	.section	.rodata,"a",@progbits
	.p2align	6, 0x0
	.amdhsa_kernel fft_rtc_fwd_len924_factors_2_2_3_7_11_wgs_44_tpt_44_halfLds_dp_op_CI_CI_sbrr_dirReg
		.amdhsa_group_segment_fixed_size 0
		.amdhsa_private_segment_fixed_size 0
		.amdhsa_kernarg_size 104
		.amdhsa_user_sgpr_count 6
		.amdhsa_user_sgpr_private_segment_buffer 1
		.amdhsa_user_sgpr_dispatch_ptr 0
		.amdhsa_user_sgpr_queue_ptr 0
		.amdhsa_user_sgpr_kernarg_segment_ptr 1
		.amdhsa_user_sgpr_dispatch_id 0
		.amdhsa_user_sgpr_flat_scratch_init 0
		.amdhsa_user_sgpr_private_segment_size 0
		.amdhsa_wavefront_size32 1
		.amdhsa_uses_dynamic_stack 0
		.amdhsa_system_sgpr_private_segment_wavefront_offset 0
		.amdhsa_system_sgpr_workgroup_id_x 1
		.amdhsa_system_sgpr_workgroup_id_y 0
		.amdhsa_system_sgpr_workgroup_id_z 0
		.amdhsa_system_sgpr_workgroup_info 0
		.amdhsa_system_vgpr_workitem_id 0
		.amdhsa_next_free_vgpr 221
		.amdhsa_next_free_sgpr 38
		.amdhsa_reserve_vcc 1
		.amdhsa_reserve_flat_scratch 0
		.amdhsa_float_round_mode_32 0
		.amdhsa_float_round_mode_16_64 0
		.amdhsa_float_denorm_mode_32 3
		.amdhsa_float_denorm_mode_16_64 3
		.amdhsa_dx10_clamp 1
		.amdhsa_ieee_mode 1
		.amdhsa_fp16_overflow 0
		.amdhsa_workgroup_processor_mode 1
		.amdhsa_memory_ordered 1
		.amdhsa_forward_progress 0
		.amdhsa_shared_vgpr_count 0
		.amdhsa_exception_fp_ieee_invalid_op 0
		.amdhsa_exception_fp_denorm_src 0
		.amdhsa_exception_fp_ieee_div_zero 0
		.amdhsa_exception_fp_ieee_overflow 0
		.amdhsa_exception_fp_ieee_underflow 0
		.amdhsa_exception_fp_ieee_inexact 0
		.amdhsa_exception_int_div_zero 0
	.end_amdhsa_kernel
	.text
.Lfunc_end0:
	.size	fft_rtc_fwd_len924_factors_2_2_3_7_11_wgs_44_tpt_44_halfLds_dp_op_CI_CI_sbrr_dirReg, .Lfunc_end0-fft_rtc_fwd_len924_factors_2_2_3_7_11_wgs_44_tpt_44_halfLds_dp_op_CI_CI_sbrr_dirReg
                                        ; -- End function
	.section	.AMDGPU.csdata,"",@progbits
; Kernel info:
; codeLenInByte = 18388
; NumSgprs: 40
; NumVgprs: 221
; ScratchSize: 0
; MemoryBound: 1
; FloatMode: 240
; IeeeMode: 1
; LDSByteSize: 0 bytes/workgroup (compile time only)
; SGPRBlocks: 4
; VGPRBlocks: 27
; NumSGPRsForWavesPerEU: 40
; NumVGPRsForWavesPerEU: 221
; Occupancy: 4
; WaveLimiterHint : 1
; COMPUTE_PGM_RSRC2:SCRATCH_EN: 0
; COMPUTE_PGM_RSRC2:USER_SGPR: 6
; COMPUTE_PGM_RSRC2:TRAP_HANDLER: 0
; COMPUTE_PGM_RSRC2:TGID_X_EN: 1
; COMPUTE_PGM_RSRC2:TGID_Y_EN: 0
; COMPUTE_PGM_RSRC2:TGID_Z_EN: 0
; COMPUTE_PGM_RSRC2:TIDIG_COMP_CNT: 0
	.text
	.p2alignl 6, 3214868480
	.fill 48, 4, 3214868480
	.type	__hip_cuid_afb604e07a30a0cb,@object ; @__hip_cuid_afb604e07a30a0cb
	.section	.bss,"aw",@nobits
	.globl	__hip_cuid_afb604e07a30a0cb
__hip_cuid_afb604e07a30a0cb:
	.byte	0                               ; 0x0
	.size	__hip_cuid_afb604e07a30a0cb, 1

	.ident	"AMD clang version 19.0.0git (https://github.com/RadeonOpenCompute/llvm-project roc-6.4.0 25133 c7fe45cf4b819c5991fe208aaa96edf142730f1d)"
	.section	".note.GNU-stack","",@progbits
	.addrsig
	.addrsig_sym __hip_cuid_afb604e07a30a0cb
	.amdgpu_metadata
---
amdhsa.kernels:
  - .args:
      - .actual_access:  read_only
        .address_space:  global
        .offset:         0
        .size:           8
        .value_kind:     global_buffer
      - .offset:         8
        .size:           8
        .value_kind:     by_value
      - .actual_access:  read_only
        .address_space:  global
        .offset:         16
        .size:           8
        .value_kind:     global_buffer
      - .actual_access:  read_only
        .address_space:  global
        .offset:         24
        .size:           8
        .value_kind:     global_buffer
      - .actual_access:  read_only
        .address_space:  global
        .offset:         32
        .size:           8
        .value_kind:     global_buffer
      - .offset:         40
        .size:           8
        .value_kind:     by_value
      - .actual_access:  read_only
        .address_space:  global
        .offset:         48
        .size:           8
        .value_kind:     global_buffer
      - .actual_access:  read_only
        .address_space:  global
        .offset:         56
        .size:           8
        .value_kind:     global_buffer
      - .offset:         64
        .size:           4
        .value_kind:     by_value
      - .actual_access:  read_only
        .address_space:  global
        .offset:         72
        .size:           8
        .value_kind:     global_buffer
      - .actual_access:  read_only
        .address_space:  global
        .offset:         80
        .size:           8
        .value_kind:     global_buffer
      - .actual_access:  read_only
        .address_space:  global
        .offset:         88
        .size:           8
        .value_kind:     global_buffer
      - .actual_access:  write_only
        .address_space:  global
        .offset:         96
        .size:           8
        .value_kind:     global_buffer
    .group_segment_fixed_size: 0
    .kernarg_segment_align: 8
    .kernarg_segment_size: 104
    .language:       OpenCL C
    .language_version:
      - 2
      - 0
    .max_flat_workgroup_size: 44
    .name:           fft_rtc_fwd_len924_factors_2_2_3_7_11_wgs_44_tpt_44_halfLds_dp_op_CI_CI_sbrr_dirReg
    .private_segment_fixed_size: 0
    .sgpr_count:     40
    .sgpr_spill_count: 0
    .symbol:         fft_rtc_fwd_len924_factors_2_2_3_7_11_wgs_44_tpt_44_halfLds_dp_op_CI_CI_sbrr_dirReg.kd
    .uniform_work_group_size: 1
    .uses_dynamic_stack: false
    .vgpr_count:     221
    .vgpr_spill_count: 0
    .wavefront_size: 32
    .workgroup_processor_mode: 1
amdhsa.target:   amdgcn-amd-amdhsa--gfx1030
amdhsa.version:
  - 1
  - 2
...

	.end_amdgpu_metadata
